;; amdgpu-corpus repo=ROCm/aiter kind=harvested arch=n/a opt=n/a

/root/src/amdgpu-assembly/repos/ROCm__aiter/hsa/gfx942/pa_a16w8_f16_2tg_g8_f8.co:	file format elf64-amdgpu

Disassembly of section .text:

0000000000001a00 <pa_a16w8_2tg_g8_f8>:
	s_and_b32 s1, s1, 0xffff                                   // 000000001A00: 8601FF01 0000FFFF
	s_load_dwordx2 s[8:9], s[0:1], 0x0                         // 000000001A08: C0060200 00000000
	s_load_dwordx2 s[12:13], s[0:1], 0x10                      // 000000001A10: C0060300 00000010
	s_load_dwordx2 s[16:17], s[0:1], 0x20                      // 000000001A18: C0060400 00000020
	s_load_dwordx2 s[20:21], s[0:1], 0x30                      // 000000001A20: C0060500 00000030
	s_load_dwordx2 s[24:25], s[0:1], 0x40                      // 000000001A28: C0060600 00000040
	s_load_dwordx2 s[28:29], s[0:1], 0x50                      // 000000001A30: C0060700 00000050
	s_load_dwordx2 s[32:33], s[0:1], 0x60                      // 000000001A38: C0060800 00000060
	s_load_dwordx2 s[36:37], s[0:1], 0x70                      // 000000001A40: C0060900 00000070
	s_load_dword s64, s[0:1], 0x80                             // 000000001A48: C0021000 00000080
	s_load_dword s65, s[0:1], 0x90                             // 000000001A50: C0021040 00000090
	s_load_dword s66, s[0:1], 0xa0                             // 000000001A58: C0021080 000000A0
	s_load_dword s74, s[0:1], 0xb0                             // 000000001A60: C0021280 000000B0
	s_load_dword s68, s[0:1], 0xc0                             // 000000001A68: C0021100 000000C0
	s_load_dword s69, s[0:1], 0xd0                             // 000000001A70: C0021140 000000D0
	s_load_dword s52, s[0:1], 0xe0                             // 000000001A78: C0020D00 000000E0
	v_lshrrev_b32_e32 v1, 10, v0                               // 000000001A80: 2002008A
	v_lshrrev_b32_e32 v2, 10, v1                               // 000000001A84: 2004028A
	v_and_b32_e32 v2, 0x3ff, v2                                // 000000001A88: 260404FF 000003FF
	v_and_b32_e32 v1, 0x3ff, v1                                // 000000001A90: 260202FF 000003FF
	v_and_b32_e32 v0, 0x3ff, v0                                // 000000001A98: 260000FF 000003FF
	v_lshrrev_b32_e32 v3, 6, v0                                // 000000001AA0: 20060086
	v_and_b32_e32 v0, 63, v0                                   // 000000001AA4: 260000BF
	s_mov_b32 s2, s2                                           // 000000001AA8: BE820002
	s_mov_b32 s3, s3                                           // 000000001AAC: BE830003
	s_mov_b32 s4, s4                                           // 000000001AB0: BE840004
	v_readfirstlane_b32 s7, v3                                 // 000000001AB4: 7E0E0503
	s_waitcnt lgkmcnt(0)                                       // 000000001AB8: BF8CC07F
	s_mul_i32 s67, 0x100, s52                                  // 000000001ABC: 924334FF 00000100
	s_mul_i32 s76, 0x100, s52                                  // 000000001AC4: 924C34FF 00000100
	s_mul_i32 s75, s66, s76                                    // 000000001ACC: 924B4C42
	s_mul_i32 s60, s3, 4                                       // 000000001AD0: 923C8403
	s_and_b32 s29, s29, 0xffff                                 // 000000001AD4: 861DFF1D 0000FFFF
	s_add_u32 s28, s60, s28                                    // 000000001ADC: 801C1C3C
	s_addc_u32 s29, 0, s29                                     // 000000001AE0: 821D1D80
	s_load_dword s72, s[28:29], 0x0                            // 000000001AE4: C002120E 00000000
	s_mov_b32 s10, s76                                         // 000000001AEC: BE8A004C
	s_mov_b32 s14, s67                                         // 000000001AF0: BE8E0043
	s_mul_i32 s60, 4, s65                                      // 000000001AF4: 923C4184
	s_mov_b32 s26, s60                                         // 000000001AF8: BE9A003C
	s_mov_b32 s34, 0x80000000                                  // 000000001AFC: BEA200FF 80000000
	s_mov_b32 s38, 0x80000000                                  // 000000001B04: BEA600FF 80000000
	s_mov_b32 s18, 0x80000000                                  // 000000001B0C: BE9200FF 80000000
	s_mov_b32 s22, 0x80000000                                  // 000000001B14: BE9600FF 80000000
	s_mov_b32 s11, 0x20000                                     // 000000001B1C: BE8B00FF 00020000
	s_mov_b32 s15, 0x20000                                     // 000000001B24: BE8F00FF 00020000
	s_mov_b32 s19, 0x20000                                     // 000000001B2C: BE9300FF 00020000
	s_mov_b32 s23, 0x20000                                     // 000000001B34: BE9700FF 00020000
	s_mov_b32 s27, 0x20000                                     // 000000001B3C: BE9B00FF 00020000
	s_mov_b32 s35, 0x20000                                     // 000000001B44: BEA300FF 00020000
	s_mov_b32 s39, 0x20000                                     // 000000001B4C: BEA700FF 00020000
	s_and_b32 s9, s9, 0xffff                                   // 000000001B54: 8609FF09 0000FFFF
	s_and_b32 s13, s13, 0xffff                                 // 000000001B5C: 860DFF0D 0000FFFF
	s_and_b32 s17, s17, 0xffff                                 // 000000001B64: 8611FF11 0000FFFF
	s_and_b32 s21, s21, 0xffff                                 // 000000001B6C: 8615FF15 0000FFFF
	s_and_b32 s25, s25, 0xffff                                 // 000000001B74: 8619FF19 0000FFFF
	s_and_b32 s33, s33, 0xffff                                 // 000000001B7C: 8621FF21 0000FFFF
	s_and_b32 s37, s37, 0xffff                                 // 000000001B84: 8625FF25 0000FFFF
	s_or_b32 s9, s9, 0x40000                                   // 000000001B8C: 8709FF09 00040000
	s_or_b32 s13, s13, 0x40000                                 // 000000001B94: 870DFF0D 00040000
	s_or_b32 s17, s17, 0x40000                                 // 000000001B9C: 8711FF11 00040000
	s_or_b32 s21, s21, 0x40000                                 // 000000001BA4: 8715FF15 00040000
	s_or_b32 s25, s25, 0x40000                                 // 000000001BAC: 8719FF19 00040000
	s_or_b32 s33, s33, 0x40000                                 // 000000001BB4: 8721FF21 00040000
	s_or_b32 s37, s37, 0x40000                                 // 000000001BBC: 8725FF25 00040000
	v_accvgpr_write_b32 a127, 0                                // 000000001BC4: D3D9407F 18000080
	v_mov_b32_e32 v21, 0                                       // 000000001BCC: 7E2A0280
	s_mul_i32 s60, s3, s65                                     // 000000001BD0: 923C4103
	s_mul_i32 s60, s60, 4                                      // 000000001BD4: 923C843C
	s_add_u32 s24, s60, s24                                    // 000000001BD8: 8018183C
	s_addc_u32 s25, 0, s25                                     // 000000001BDC: 82191980
	s_mov_b32 s56, 64                                          // 000000001BE0: BEB800C0
	s_waitcnt lgkmcnt(0)                                       // 000000001BE4: BF8CC07F
	s_add_u32 s73, s72, 15                                     // 000000001BE8: 80498F48
	s_lshr_b32 s73, s73, 4                                     // 000000001BEC: 8F498449
	s_mul_i32 s60, s73, 4                                      // 000000001BF0: 923C8449
	s_mov_b32 s26, s60                                         // 000000001BF4: BE9A003C
	v_and_b32_e32 v39, 3, v0                                   // 000000001BF8: 264E0083
	v_cmp_eq_u32_e64 s[60:61], 0, v39                          // 000000001BFC: D0CA003C 00024E80
	v_and_b32_e32 v38, 12, v0                                  // 000000001C04: 264C008C
	v_add_u32_e32 v1, s7, v38                                  // 000000001C08: 68024C07
	v_cndmask_b32_e64 v1, 0, v1, s[60:61]                      // 000000001C0C: D1000001 00F20280
	v_and_b32_e32 v39, 3, v0                                   // 000000001C14: 264E0083
	v_cmp_eq_u32_e64 s[60:61], 1, v39                          // 000000001C18: D0CA003C 00024E81
	v_lshrrev_b32_e32 v38, 4, v0                               // 000000001C20: 204C0084
	v_and_b32_e32 v39, 12, v0                                  // 000000001C24: 264E008C
	v_add_u32_e32 v38, v39, v38                                // 000000001C28: 684C4D27
	v_cndmask_b32_e64 v38, 0, v38, s[60:61]                    // 000000001C2C: D1000026 00F24C80
	v_add_u32_e32 v1, v1, v38                                  // 000000001C34: 68024D01
	v_lshlrev_b32_e32 v1, 2, v1                                // 000000001C38: 24020282
	buffer_load_dword v16, v1, s[24:27], 0 offen               // 000000001C3C: E0501000 80061001
	v_add_u32_e32 v1, s56, v1                                  // 000000001C44: 68020238
	buffer_load_dword v17, v1, s[24:27], 0 offen               // 000000001C48: E0501000 80061101
	s_cmp_le_u32 s73, 32                                       // 000000001C50: BF0BA049
	s_cselect_b32 s56, 0, s56                                  // 000000001C54: 85383880
	s_mul_i32 s60, s2, s67                                     // 000000001C58: 923C4302
	s_mul_i32 s61, s3, s74                                     // 000000001C5C: 923D4A03
	s_add_u32 s60, s60, s61                                    // 000000001C60: 803C3D3C
	s_add_u32 s12, s60, s12                                    // 000000001C64: 800C0C3C
	s_addc_u32 s13, 0, s13                                     // 000000001C68: 820D0D80
	s_mul_i32 s60, s7, 0x108                                   // 000000001C6C: 923CFF07 00000108
	s_add_u32 m0, 0, s60                                       // 000000001C74: 807C3C80
	s_mul_i32 s60, s7, 0x100                                   // 000000001C78: 923CFF07 00000100
	v_lshlrev_b32_e32 v38, 2, v0                               // 000000001C80: 244C0082
	v_add_u32_e64 v38, v38, s60                                // 000000001C84: D1340026 00007926
	buffer_load_dword v38, s[12:15], 0 offen lds               // 000000001C8C: E0511000 80030026
	s_mul_i32 s60, 4, 0x108                                    // 000000001C94: 923CFF84 00000108
	s_add_u32 m0, m0, s60                                      // 000000001C9C: 807C3C7C
	v_add_u32_e32 v38, 0x400, v38                              // 000000001CA0: 684C4CFF 00000400
	buffer_load_dword v38, s[12:15], 0 offen lds               // 000000001CA8: E0511000 80030026
	s_mul_i32 s60, 4, 0x108                                    // 000000001CB0: 923CFF84 00000108
	s_add_u32 m0, m0, s60                                      // 000000001CB8: 807C3C7C
	v_add_u32_e32 v38, 0x400, v38                              // 000000001CBC: 684C4CFF 00000400
	s_mul_i32 s60, s7, 0x108                                   // 000000001CC4: 923CFF07 00000108
	v_lshlrev_b32_e32 v38, 2, v0                               // 000000001CCC: 244C0082
	v_add_u32_e64 v38, v38, s60                                // 000000001CD0: D1340026 00007926
	v_mov_b32_e32 v39, 0                                       // 000000001CD8: 7E4E0280
	ds_write_b32 v38, v39 offset:2112                          // 000000001CDC: D81A0840 00002726
	ds_write_b32 v38, v39 offset:3168                          // 000000001CE4: D81A0C60 00002726
	v_lshrrev_b32_e32 v38, 4, v0                               // 000000001CEC: 204C0084
	v_lshlrev_b32_e32 v38, 2, v38                              // 000000001CF0: 244C4C82
	v_and_b32_e32 v39, 3, v0                                   // 000000001CF4: 264E0083
	v_add_u32_e32 v38, v39, v38                                // 000000001CF8: 684C4D27
	v_lshlrev_b32_e32 v57, 2, v38                              // 000000001CFC: 24724C82
	v_mov_b32_e32 v58, v57                                     // 000000001D00: 7E740339
	s_mul_i32 s60, s2, 64                                      // 000000001D04: 923CC002
	s_add_u32 s32, s60, s32                                    // 000000001D08: 8020203C
	s_addc_u32 s33, 0, s33                                     // 000000001D0C: 82212180
	s_add_u32 s36, s60, s36                                    // 000000001D10: 8024243C
	s_addc_u32 s37, 0, s37                                     // 000000001D14: 82252580
	s_mul_i32 s60, s2, s76                                     // 000000001D18: 923C4C02
	s_mul_i32 s61, s3, s75                                     // 000000001D1C: 923D4B03
	s_add_u32 s60, s60, s61                                    // 000000001D20: 803C3D3C
	s_add_u32 s8, s60, s8                                      // 000000001D24: 8008083C
	s_addc_u32 s9, 0, s9                                       // 000000001D28: 82090980
	s_mul_i32 s60, s7, 0x100                                   // 000000001D2C: 923CFF07 00000100
	v_lshlrev_b32_e32 v8, 2, v0                                // 000000001D34: 24100082
	v_add_u32_e64 v8, v8, s60                                  // 000000001D38: D1340008 00007908
	s_mov_b32 s70, 0                                           // 000000001D40: BEC60080
	s_and_b32 s71, s72, 0xffffff00                             // 000000001D44: 8647FF48 FFFFFF00
	s_mov_b32 s42, 0xff00ff00                                  // 000000001D4C: BEAA00FF FF00FF00
	s_mov_b32 s43, 0xff00ff00                                  // 000000001D54: BEAB00FF FF00FF00
	s_mov_b32 s44, 0xf0f0f0f0                                  // 000000001D5C: BEAC00FF F0F0F0F0
	s_mov_b32 s45, 0xf0f0f0f0                                  // 000000001D64: BEAD00FF F0F0F0F0
	v_mul_i32_i24_e64 v61, 64, s66                             // 000000001D6C: D106003D 000084C0
	v_mov_b32_e32 v51, s68                                     // 000000001D74: 7E660244
	v_mov_b32_e32 v9, -1                                       // 000000001D78: 7E1202C1
	s_mov_b32 s53, 0x400                                       // 000000001D7C: BEB500FF 00000400
	s_mov_b32 s54, 0x40100                                     // 000000001D84: BEB600FF 00040100
	s_mov_b32 s55, 0x4020100                                   // 000000001D8C: BEB700FF 04020100
	v_mov_b32_dpp v9, v9 row_shl:8 row_mask:0xf bank_mask:0xf bound_ctrl:1// 000000001D94: 7E1202FA FF090809
	s_mov_b32 s6, 0x3fb8aa3b                                   // 000000001D9C: BE8600FF 3FB8AA3B
	v_mov_b32_e32 v14, 0xff800000                              // 000000001DA4: 7E1C02FF FF800000
	v_mov_b32_e32 v52, 0xff800000                              // 000000001DAC: 7E6802FF FF800000
	v_mov_b32_e32 v49, 0                                       // 000000001DB4: 7E620280
	v_mov_b32_e32 v42, 0                                       // 000000001DB8: 7E540280
	v_mov_b32_e32 v47, 0                                       // 000000001DBC: 7E5E0280
	v_mov_b32_e32 v19, 0xffff0000                              // 000000001DC0: 7E2602FF FFFF0000
	v_mov_b32_e32 v20, 0x7fff0000                              // 000000001DC8: 7E2802FF 7FFF0000
	v_mov_b32_e32 v21, 0x7fff                                  // 000000001DD0: 7E2A02FF 00007FFF
	v_add_u32_e32 v1, s56, v1                                  // 000000001DD8: 68020238
	v_and_b32_e32 v10, 15, v0                                  // 000000001DDC: 2614008F
	v_lshlrev_b32_e32 v10, 2, v10                              // 000000001DE0: 24141482
	v_lshlrev_b32_e32 v11, 2, v0                               // 000000001DE4: 24160082
	s_mul_i32 s60, 0x100, s7                                   // 000000001DE8: 923C07FF 00000100
	v_add_u32_e32 v11, s60, v11                                // 000000001DF0: 6816163C
	v_lshrrev_b32_e32 v38, 4, v0                               // 000000001DF4: 204C0084
	v_lshlrev_b32_e32 v39, 6, v38                              // 000000001DF8: 244E4C86
	v_and_b32_e32 v38, 15, v0                                  // 000000001DFC: 264C008F
	v_lshlrev_b32_e32 v38, 1, v38                              // 000000001E00: 244C4C81
	v_add_u32_e32 v39, v38, v39                                // 000000001E04: 684E4F26
	v_lshlrev_b32_e32 v12, 2, v39                              // 000000001E08: 24184E82
	v_lshrrev_b32_e32 v38, 5, v0                               // 000000001E0C: 204C0085
	v_lshlrev_b32_e32 v39, 5, v38                              // 000000001E10: 244E4C85
	v_and_b32_e32 v38, 31, v0                                  // 000000001E14: 264C009F
	v_lshrrev_b32_e32 v40, 4, v38                              // 000000001E18: 20504C84
	v_add_u32_e32 v39, v40, v39                                // 000000001E1C: 684E4F28
	v_and_b32_e32 v38, 15, v0                                  // 000000001E20: 264C008F
	v_lshlrev_b32_e32 v38, 1, v38                              // 000000001E24: 244C4C81
	v_add_u32_e32 v39, v38, v39                                // 000000001E28: 684E4F26
	v_lshlrev_b32_e32 v38, 2, v39                              // 000000001E2C: 244C4E82
	s_mul_i32 s60, 0x100, s7                                   // 000000001E30: 923C07FF 00000100
	v_add_u32_e64 v13, v38, s60                                // 000000001E38: D134000D 00007926
	v_lshlrev_b32_e32 v6, 4, v0                                // 000000001E40: 240C0084
	s_mul_i32 s60, s2, s69                                     // 000000001E44: 923C4502
	s_add_u32 s16, s60, s16                                    // 000000001E48: 8010103C
	s_addc_u32 s17, 0, s17                                     // 000000001E4C: 82111180
	v_and_b32_e32 v38, 15, v0                                  // 000000001E50: 264C008F
	v_lshlrev_b32_e32 v7, 4, v38                               // 000000001E54: 240E4C84
	s_mul_i32 s61, s2, s69                                     // 000000001E58: 923D4502
	s_mul_i32 s60, s7, 0x100                                   // 000000001E5C: 923CFF07 00000100
	s_add_u32 s60, s60, s61                                    // 000000001E64: 803C3D3C
	s_add_u32 s20, s60, s20                                    // 000000001E68: 8014143C
	s_addc_u32 s21, 0, s21                                     // 000000001E6C: 82151580
	s_waitcnt vmcnt(2)                                         // 000000001E70: BF8C0F72
	v_mul_u32_u24_dpp v38, v16, v51 row_newbcast:0 row_mask:0xf bank_mask:0xf// 000000001E74: 104C66FA FF015010
	v_mul_u32_u24_dpp v39, v16, v51 row_newbcast:4 row_mask:0xf bank_mask:0xf// 000000001E7C: 104E66FA FF015410
	v_mul_u32_u24_dpp v40, v16, v51 row_newbcast:8 row_mask:0xf bank_mask:0xf// 000000001E84: 105066FA FF015810
	v_mul_u32_u24_dpp v41, v16, v51 row_newbcast:12 row_mask:0xf bank_mask:0xf// 000000001E8C: 105266FA FF015C10
	v_add_u32_e32 v22, v38, v6                                 // 000000001E94: 682C0D26
	v_add_u32_e32 v23, v39, v6                                 // 000000001E98: 682E0D27
	v_add_u32_e32 v24, v40, v6                                 // 000000001E9C: 68300D28
	v_add_u32_e32 v25, v41, v6                                 // 000000001EA0: 68320D29
	v_mul_u32_u24_dpp v38, v16, v51 row_newbcast:1 row_mask:0xf bank_mask:0xf// 000000001EA4: 104C66FA FF015110
	v_mul_u32_u24_dpp v39, v16, v51 row_newbcast:5 row_mask:0xf bank_mask:0xf// 000000001EAC: 104E66FA FF015510
	v_mul_u32_u24_dpp v40, v16, v51 row_newbcast:9 row_mask:0xf bank_mask:0xf// 000000001EB4: 105066FA FF015910
	v_mul_u32_u24_dpp v41, v16, v51 row_newbcast:13 row_mask:0xf bank_mask:0xf// 000000001EBC: 105266FA FF015D10
	v_add_u32_e32 v30, v38, v7                                 // 000000001EC4: 683C0F26
	v_add_u32_e32 v31, v39, v7                                 // 000000001EC8: 683E0F27
	v_add_u32_e32 v32, v40, v7                                 // 000000001ECC: 68400F28
	v_add_u32_e32 v33, v41, v7                                 // 000000001ED0: 68420F29
	v_mul_u32_u24_dpp v38, v16, v61 quad_perm:[0,0,0,0] row_mask:0xf bank_mask:0xf// 000000001ED4: 104C7AFA FF000010
	v_add_u32_e32 v2, v38, v57                                 // 000000001EDC: 68047326
	v_mul_u32_u24_dpp v38, v16, v61 quad_perm:[0,0,0,0] row_mask:0xf bank_mask:0xf// 000000001EE0: 104C7AFA FF000010
	v_add_u32_e32 v53, v38, v58                                // 000000001EE8: 686A7526
	buffer_load_dword v44, v2, s[32:35], 0 offen               // 000000001EEC: E0501000 80082C02
	buffer_load_dwordx4 a[0:3], v22, s[16:19], 0 offen         // 000000001EF4: E05C1000 80840016
	buffer_load_dwordx4 a[4:7], v22, s[16:19], 0 offen offset:1024// 000000001EFC: E05C1400 80840416
	buffer_load_dwordx4 a[8:11], v23, s[16:19], 0 offen        // 000000001F04: E05C1000 80840817
	buffer_load_dwordx4 a[12:15], v23, s[16:19], 0 offen offset:1024// 000000001F0C: E05C1400 80840C17
	buffer_load_dwordx4 a[16:19], v24, s[16:19], 0 offen       // 000000001F14: E05C1000 80841018
	buffer_load_dwordx4 a[20:23], v24, s[16:19], 0 offen offset:1024// 000000001F1C: E05C1400 80841418
	buffer_load_dwordx4 a[24:27], v25, s[16:19], 0 offen       // 000000001F24: E05C1000 80841819
	buffer_load_dwordx4 a[28:31], v25, s[16:19], 0 offen offset:1024// 000000001F2C: E05C1400 80841C19
	buffer_load_dword v55, v53, s[36:39], 0 offen              // 000000001F34: E0501000 80093735
	buffer_load_dwordx4 a[64:67], v30, s[20:23], 0 offen       // 000000001F3C: E05C1000 8085401E
	buffer_load_dwordx4 a[68:71], v31, s[20:23], 0 offen       // 000000001F44: E05C1000 8085441F
	buffer_load_dwordx4 a[72:75], v32, s[20:23], 0 offen       // 000000001F4C: E05C1000 80854820
	buffer_load_dwordx4 a[76:79], v33, s[20:23], 0 offen       // 000000001F54: E05C1000 80854C21
	buffer_load_dwordx4 a[80:83], v30, s[20:23], 0 offen offset:1024// 000000001F5C: E05C1400 8085501E
	buffer_load_dwordx4 a[84:87], v31, s[20:23], 0 offen offset:1024// 000000001F64: E05C1400 8085541F
	buffer_load_dwordx4 a[88:91], v32, s[20:23], 0 offen offset:1024// 000000001F6C: E05C1400 80855820
	buffer_load_dwordx4 a[92:95], v33, s[20:23], 0 offen offset:1024// 000000001F74: E05C1400 80855C21
	v_lshrrev_b32_e32 v38, 4, v0                               // 000000001F7C: 204C0084
	v_lshlrev_b32_e32 v39, 1, v38                              // 000000001F80: 244E4C81
	v_and_b32_e32 v38, 15, v0                                  // 000000001F84: 264C008F
	v_mul_i32_i24_e32 v38, 0x42, v38                           // 000000001F88: 0C4C4CFF 00000042
	v_add_u32_e32 v39, v38, v39                                // 000000001F90: 684E4F26
	v_lshlrev_b32_e32 v4, 2, v39                               // 000000001F94: 24084E82
	s_mul_i32 s60, s7, 32                                      // 000000001F98: 923CA007
	v_add_u32_e32 v4, s60, v4                                  // 000000001F9C: 6808083C
	s_waitcnt vmcnt(16) lgkmcnt(0)                             // 000000001FA0: BF8C4070
	s_barrier                                                  // 000000001FA4: BF8A0000
	ds_read_b64 v[80:81], v4                                   // 000000001FA8: D8EC0000 50000004
	ds_read_b64 v[84:85], v4 offset:128                        // 000000001FB0: D8EC0080 54000004
	s_waitcnt lgkmcnt(0)                                       // 000000001FB8: BF8CC07F
	v_cvt_f32_f16_sdwa v83, v81 dst_sel:DWORD dst_unused:UNUSED_PRESERVE src0_sel:WORD_1// 000000001FBC: 7EA616F9 00051651
	v_cvt_f32_f16_e32 v82, v81                                 // 000000001FC4: 7EA41751
	v_cvt_f32_f16_sdwa v81, v80 dst_sel:DWORD dst_unused:UNUSED_PRESERVE src0_sel:WORD_1// 000000001FC8: 7EA216F9 00051650
	v_cvt_f32_f16_e32 v80, v80                                 // 000000001FD0: 7EA01750
	v_cvt_f32_f16_sdwa v87, v85 dst_sel:DWORD dst_unused:UNUSED_PRESERVE src0_sel:WORD_1// 000000001FD4: 7EAE16F9 00051655
	v_cvt_f32_f16_e32 v86, v85                                 // 000000001FDC: 7EAC1755
	v_cvt_f32_f16_sdwa v85, v84 dst_sel:DWORD dst_unused:UNUSED_PRESERVE src0_sel:WORD_1// 000000001FE0: 7EAA16F9 00051654
	v_cvt_f32_f16_e32 v84, v84                                 // 000000001FE8: 7EA81754
	v_mov_b32_e32 v48, 0x358637bd                              // 000000001FEC: 7E6002FF 358637BD
	v_max3_f32 v48, |v80|, |v81|, v48                          // 000000001FF4: D1D30330 04C2A350
	v_max3_f32 v48, |v82|, |v83|, v48                          // 000000001FFC: D1D30330 04C2A752
	v_max3_f32 v48, |v84|, |v85|, v48                          // 000000002004: D1D30330 04C2AB54
	v_max3_f32 v48, |v86|, |v87|, v48                          // 00000000200C: D1D30330 04C2AF56
	ds_write_b32 v11, v48 offset:4224                          // 000000002014: D81A1080 0000300B
	s_waitcnt lgkmcnt(0)                                       // 00000000201C: BF8CC07F
	s_barrier                                                  // 000000002020: BF8A0000
	ds_read_b32 v64, v10 offset:4224                           // 000000002024: D86C1080 4000000A
	ds_read_b32 v65, v10 offset:4288                           // 00000000202C: D86C10C0 4100000A
	ds_read_b32 v66, v10 offset:4352                           // 000000002034: D86C1100 4200000A
	ds_read_b32 v67, v10 offset:4416                           // 00000000203C: D86C1140 4300000A
	ds_read_b32 v68, v10 offset:4480                           // 000000002044: D86C1180 4400000A
	ds_read_b32 v69, v10 offset:4544                           // 00000000204C: D86C11C0 4500000A
	ds_read_b32 v70, v10 offset:4608                           // 000000002054: D86C1200 4600000A
	ds_read_b32 v71, v10 offset:4672                           // 00000000205C: D86C1240 4700000A
	ds_read_b32 v72, v10 offset:4736                           // 000000002064: D86C1280 4800000A
	ds_read_b32 v73, v10 offset:4800                           // 00000000206C: D86C12C0 4900000A
	ds_read_b32 v74, v10 offset:4864                           // 000000002074: D86C1300 4A00000A
	ds_read_b32 v75, v10 offset:4928                           // 00000000207C: D86C1340 4B00000A
	ds_read_b32 v76, v10 offset:4992                           // 000000002084: D86C1380 4C00000A
	ds_read_b32 v77, v10 offset:5056                           // 00000000208C: D86C13C0 4D00000A
	ds_read_b32 v78, v10 offset:5120                           // 000000002094: D86C1400 4E00000A
	ds_read_b32 v79, v10 offset:5184                           // 00000000209C: D86C1440 4F00000A
	s_waitcnt lgkmcnt(0)                                       // 0000000020A4: BF8CC07F
	v_max3_f32 v48, |v64|, |v65|, v48                          // 0000000020A8: D1D30330 04C28340
	v_max3_f32 v48, |v66|, |v67|, v48                          // 0000000020B0: D1D30330 04C28742
	v_max3_f32 v48, |v68|, |v69|, v48                          // 0000000020B8: D1D30330 04C28B44
	v_max3_f32 v48, |v70|, |v71|, v48                          // 0000000020C0: D1D30330 04C28F46
	v_max3_f32 v48, |v72|, |v73|, v48                          // 0000000020C8: D1D30330 04C29348
	v_max3_f32 v48, |v74|, |v75|, v48                          // 0000000020D0: D1D30330 04C2974A
	v_max3_f32 v48, |v76|, |v77|, v48                          // 0000000020D8: D1D30330 04C29B4C
	v_max3_f32 v48, |v78|, |v79|, v48                          // 0000000020E0: D1D30330 04C29F4E
	v_rcp_f32_e32 v48, v48                                     // 0000000020E8: 7E604530
	s_nop 1                                                    // 0000000020EC: BF800001
	v_mul_f32_e32 v48, 0x43700000, v48                         // 0000000020F0: 0A6060FF 43700000
	v_mul_f32_e32 v80, v48, v80                                // 0000000020F8: 0AA0A130
	v_mul_f32_e32 v81, v48, v81                                // 0000000020FC: 0AA2A330
	v_mul_f32_e32 v82, v48, v82                                // 000000002100: 0AA4A530
	v_mul_f32_e32 v83, v48, v83                                // 000000002104: 0AA6A730
	v_mul_f32_e32 v84, v48, v84                                // 000000002108: 0AA8A930
	v_mul_f32_e32 v85, v48, v85                                // 00000000210C: 0AAAAB30
	v_mul_f32_e32 v86, v48, v86                                // 000000002110: 0AACAD30
	v_mul_f32_e32 v87, v48, v87                                // 000000002114: 0AAEAF30
	v_rcp_f32_e32 v46, v48                                     // 000000002118: 7E5C4530
	v_cvt_pk_fp8_f32 v80, v80, v81                             // 00000000211C: D2A20050 0002A350
	v_cvt_pk_fp8_f32 v80, v82, v83 op_sel:[0,0,1]              // 000000002124: D2A24050 0002A752
	v_cvt_pk_fp8_f32 v81, v84, v85                             // 00000000212C: D2A20051 0002AB54
	v_cvt_pk_fp8_f32 v81, v86, v87 op_sel:[0,0,1]              // 000000002134: D2A24051 0002AF56
	ds_write_b32 v13, v80 offset:6272                          // 00000000213C: D81A1880 0000500D
	ds_write_b32 v13, v81 offset:7296                          // 000000002144: D81A1C80 0000510D
	s_waitcnt lgkmcnt(0)                                       // 00000000214C: BF8CC07F
	s_barrier                                                  // 000000002150: BF8A0000
	v_and_b32_e32 v46, v9, v46                                 // 000000002154: 265C5D09
	ds_read_b64 v[80:81], v12 offset:6272                      // 000000002158: D8EC1880 5000000C
	ds_read_b64 v[82:83], v12 offset:6400                      // 000000002160: D8EC1900 5200000C
	ds_read_b64 v[84:85], v12 offset:7296                      // 000000002168: D8EC1C80 5400000C
	ds_read_b64 v[86:87], v12 offset:7424                      // 000000002170: D8EC1D00 5600000C
	v_mov_b32_e32 v112, 0                                      // 000000002178: 7EE00280
	v_mov_b32_e32 v113, 0                                      // 00000000217C: 7EE20280
	v_mov_b32_e32 v114, 0                                      // 000000002180: 7EE40280
	v_mov_b32_e32 v115, 0                                      // 000000002184: 7EE60280
	v_mov_b32_e32 v104, 0                                      // 000000002188: 7ED00280
	v_mov_b32_e32 v105, 0                                      // 00000000218C: 7ED20280
	v_mov_b32_e32 v106, 0                                      // 000000002190: 7ED40280
	v_mov_b32_e32 v107, 0                                      // 000000002194: 7ED60280
	v_mov_b32_e32 v108, 0                                      // 000000002198: 7ED80280
	v_mov_b32_e32 v109, 0                                      // 00000000219C: 7EDA0280
	v_mov_b32_e32 v110, 0                                      // 0000000021A0: 7EDC0280
	v_mov_b32_e32 v111, 0                                      // 0000000021A4: 7EDE0280
	v_or_b32_dpp v46, v46, v46 row_shr:8 row_mask:0xf bank_mask:0xf bound_ctrl:1// 0000000021A8: 285C5CFA FF09182E
	s_waitcnt vmcnt(8) lgkmcnt(0)                              // 0000000021B0: BF8C0078
	s_barrier                                                  // 0000000021B4: BF8A0000
	s_cmp_lt_u32 s73, 16                                       // 0000000021B8: BF0A9049
	s_cbranch_scc1 label_0961                                  // 0000000021BC: BF85076F
	s_cmp_lt_i32 s7, 2                                         // 0000000021C0: BF048207
	s_cbranch_scc0 label_05AC                                  // 0000000021C4: BF8403B8

00000000000021c8 <label_01F4>:
	s_waitcnt vmcnt(8) lgkmcnt(0)                              // 0000000021C8: BF8C0078
	v_mul_u32_u24_dpp v38, v17, v51 row_newbcast:0 row_mask:0xf bank_mask:0xf// 0000000021CC: 104C66FA FF015011
	v_mul_u32_u24_dpp v39, v17, v51 row_newbcast:4 row_mask:0xf bank_mask:0xf// 0000000021D4: 104E66FA FF015411
	v_mul_u32_u24_dpp v40, v17, v51 row_newbcast:8 row_mask:0xf bank_mask:0xf// 0000000021DC: 105066FA FF015811
	v_mul_u32_u24_dpp v41, v17, v51 row_newbcast:12 row_mask:0xf bank_mask:0xf// 0000000021E4: 105266FA FF015C11
	v_add_u32_e32 v26, v38, v6                                 // 0000000021EC: 68340D26
	v_add_u32_e32 v27, v39, v6                                 // 0000000021F0: 68360D27
	v_add_u32_e32 v28, v40, v6                                 // 0000000021F4: 68380D28
	v_add_u32_e32 v29, v41, v6                                 // 0000000021F8: 683A0D29
	v_mul_u32_u24_dpp v38, v17, v61 quad_perm:[0,0,0,0] row_mask:0xf bank_mask:0xf// 0000000021FC: 104C7AFA FF000011
	v_add_u32_e32 v3, v38, v57                                 // 000000002204: 68067326
	v_mul_u32_u24_dpp v38, v17, v61 quad_perm:[0,0,0,0] row_mask:0xf bank_mask:0xf// 000000002208: 104C7AFA FF000011
	v_add_u32_e32 v54, v38, v58                                // 000000002210: 686C7526
	v_mfma_f32_16x16x32_fp8_fp8 v[88:91], a[0:1], v[80:81], 0  // 000000002214: D3F30058 0A02A100
	v_mfma_f32_16x16x32_fp8_fp8 v[88:91], a[2:3], v[82:83], v[88:91]// 00000000221C: D3F30058 0D62A502
	buffer_load_dwordx4 a[32:35], v26, s[16:19], 0 offen       // 000000002224: E05C1000 8084201A
	v_mfma_f32_16x16x32_fp8_fp8 v[88:91], a[4:5], v[84:85], v[88:91]// 00000000222C: D3F30058 0D62A904
	v_mfma_f32_16x16x32_fp8_fp8 v[88:91], a[6:7], v[86:87], v[88:91]// 000000002234: D3F30058 0D62AD06
	buffer_load_dword v16, v1, s[24:27], 0 offen               // 00000000223C: E0501000 80061001
	v_mfma_f32_16x16x32_fp8_fp8 v[92:95], a[8:9], v[80:81], 0  // 000000002244: D3F3005C 0A02A108
	v_mfma_f32_16x16x32_fp8_fp8 v[92:95], a[10:11], v[82:83], v[92:95]// 00000000224C: D3F3005C 0D72A50A
	buffer_load_dwordx4 a[36:39], v26, s[16:19], 0 offen offset:1024// 000000002254: E05C1400 8084241A
	v_mfma_f32_16x16x32_fp8_fp8 v[92:95], a[12:13], v[84:85], v[92:95]// 00000000225C: D3F3005C 0D72A90C
	v_mfma_f32_16x16x32_fp8_fp8 v[92:95], a[14:15], v[86:87], v[92:95]// 000000002264: D3F3005C 0D72AD0E
	v_mfma_f32_16x16x32_fp8_fp8 v[96:99], a[16:17], v[80:81], 0// 00000000226C: D3F30060 0A02A110
	v_mfma_f32_16x16x32_fp8_fp8 v[96:99], a[18:19], v[82:83], v[96:99]// 000000002274: D3F30060 0D82A512
	buffer_load_dwordx4 a[40:43], v27, s[16:19], 0 offen       // 00000000227C: E05C1000 8084281B
	v_mfma_f32_16x16x32_fp8_fp8 v[96:99], a[20:21], v[84:85], v[96:99]// 000000002284: D3F30060 0D82A914
	v_mfma_f32_16x16x32_fp8_fp8 v[96:99], a[22:23], v[86:87], v[96:99]// 00000000228C: D3F30060 0D82AD16
	v_mfma_f32_16x16x32_fp8_fp8 v[100:103], a[24:25], v[80:81], 0// 000000002294: D3F30064 0A02A118
	v_mfma_f32_16x16x32_fp8_fp8 v[100:103], a[26:27], v[82:83], v[100:103]// 00000000229C: D3F30064 0D92A51A
	buffer_load_dwordx4 a[44:47], v27, s[16:19], 0 offen offset:1024// 0000000022A4: E05C1400 80842C1B
	v_mfma_f32_16x16x32_fp8_fp8 v[100:103], a[28:29], v[84:85], v[100:103]// 0000000022AC: D3F30064 0D92A91C
	v_mfma_f32_16x16x32_fp8_fp8 v[100:103], a[30:31], v[86:87], v[100:103]// 0000000022B4: D3F30064 0D92AD1E
	buffer_load_dword v45, v3, s[32:35], 0 offen               // 0000000022BC: E0501000 80082D03
	v_mov_b32_dpp v38, v44 row_shr:4 row_mask:0xf bank_mask:0xf// 0000000022C4: 7E4C02FA FF01142C
	v_mov_b32_dpp v39, v44 row_shl:4 row_mask:0xf bank_mask:0xf// 0000000022CC: 7E4E02FA FF01042C
	v_cndmask_b32_e64 v18, v44, v38, s[44:45]                  // 0000000022D4: D1000012 00B24D2C
	v_cndmask_b32_e64 v19, v39, v44, s[44:45]                  // 0000000022DC: D1000013 00B25927
	v_mov_b32_dpp v38, v55 row_shr:4 row_mask:0xf bank_mask:0xf// 0000000022E4: 7E4C02FA FF011437
	v_mov_b32_dpp v39, v55 row_shl:4 row_mask:0xf bank_mask:0xf// 0000000022EC: 7E4E02FA FF010437
	v_cndmask_b32_e64 v20, v55, v38, s[44:45]                  // 0000000022F4: D1000014 00B24D37
	v_cndmask_b32_e64 v21, v39, v55, s[44:45]                  // 0000000022FC: D1000015 00B26F27
	v_or_b32_dpp v88, v96, v88 row_shr:8 row_mask:0xf bank_mask:0xf bound_ctrl:1// 000000002304: 28B0B0FA FF091860
	v_or_b32_dpp v89, v97, v89 row_shr:8 row_mask:0xf bank_mask:0xf bound_ctrl:1// 00000000230C: 28B2B2FA FF091861
	v_or_b32_dpp v90, v98, v90 row_shr:8 row_mask:0xf bank_mask:0xf bound_ctrl:1// 000000002314: 28B4B4FA FF091862
	v_or_b32_dpp v91, v99, v91 row_shr:8 row_mask:0xf bank_mask:0xf bound_ctrl:1// 00000000231C: 28B6B6FA FF091863
	v_or_b32_dpp v92, v100, v92 row_shr:8 row_mask:0xf bank_mask:0xf bound_ctrl:1// 000000002324: 28B8B8FA FF091864
	v_or_b32_dpp v93, v101, v93 row_shr:8 row_mask:0xf bank_mask:0xf bound_ctrl:1// 00000000232C: 28BABAFA FF091865
	v_or_b32_dpp v94, v102, v94 row_shr:8 row_mask:0xf bank_mask:0xf bound_ctrl:1// 000000002334: 28BCBCFA FF091866
	v_or_b32_dpp v95, v103, v95 row_shr:8 row_mask:0xf bank_mask:0xf bound_ctrl:1// 00000000233C: 28BEBEFA FF091867
	buffer_load_dword v56, v54, s[36:39], 0 offen              // 000000002344: E0501000 80093836
	v_mul_f32_e32 v88, v46, v88                                // 00000000234C: 0AB0B12E
	v_mul_f32_e32 v89, v46, v89                                // 000000002350: 0AB2B32E
	v_mul_f32_e32 v90, v46, v90                                // 000000002354: 0AB4B52E
	v_mul_f32_e32 v91, v46, v91                                // 000000002358: 0AB6B72E
	v_mul_f32_e32 v92, v46, v92                                // 00000000235C: 0AB8B92E
	v_mul_f32_e32 v93, v46, v93                                // 000000002360: 0ABABB2E
	v_mul_f32_e32 v94, v46, v94                                // 000000002364: 0ABCBD2E
	v_mul_f32_e32 v95, v46, v95                                // 000000002368: 0ABEBF2E
	buffer_load_dwordx4 a[48:51], v28, s[16:19], 0 offen       // 00000000236C: E05C1000 8084301C
	v_mul_f32_dpp v88, v18, v88 quad_perm:[0,0,0,0] row_mask:0xf bank_mask:0xf// 000000002374: 0AB0B0FA FF000012
	v_mul_f32_dpp v89, v18, v89 quad_perm:[1,1,1,1] row_mask:0xf bank_mask:0xf// 00000000237C: 0AB2B2FA FF005512
	v_mul_f32_dpp v90, v18, v90 quad_perm:[2,2,2,2] row_mask:0xf bank_mask:0xf// 000000002384: 0AB4B4FA FF00AA12
	v_mul_f32_dpp v91, v18, v91 quad_perm:[3,3,3,3] row_mask:0xf bank_mask:0xf// 00000000238C: 0AB6B6FA FF00FF12
	v_mul_f32_dpp v92, v19, v92 quad_perm:[0,0,0,0] row_mask:0xf bank_mask:0xf// 000000002394: 0AB8B8FA FF000013
	v_mul_f32_dpp v93, v19, v93 quad_perm:[1,1,1,1] row_mask:0xf bank_mask:0xf// 00000000239C: 0ABABAFA FF005513
	v_mul_f32_dpp v94, v19, v94 quad_perm:[2,2,2,2] row_mask:0xf bank_mask:0xf// 0000000023A4: 0ABCBCFA FF00AA13
	v_mul_f32_dpp v95, v19, v95 quad_perm:[3,3,3,3] row_mask:0xf bank_mask:0xf// 0000000023AC: 0ABEBEFA FF00FF13
	buffer_load_dwordx4 a[52:55], v28, s[16:19], 0 offen offset:1024// 0000000023B4: E05C1400 8084341C
	v_mov_b32_e32 v48, v88                                     // 0000000023BC: 7E600358
	v_max3_f32 v48, v88, v89, v48                              // 0000000023C0: D1D30030 04C2B358
	v_max3_f32 v48, v90, v91, v48                              // 0000000023C8: D1D30030 04C2B75A
	v_max3_f32 v48, v92, v93, v48                              // 0000000023D0: D1D30030 04C2BB5C
	v_max3_f32 v48, v94, v95, v48                              // 0000000023D8: D1D30030 04C2BF5E
	ds_write_b32 v11, v48 offset:4224                          // 0000000023E0: D81A1080 0000300B
	buffer_load_dwordx4 a[56:59], v29, s[16:19], 0 offen       // 0000000023E8: E05C1000 8084381D
	v_mul_u32_u24_dpp v38, v17, v51 row_newbcast:1 row_mask:0xf bank_mask:0xf// 0000000023F0: 104C66FA FF015111
	v_mul_u32_u24_dpp v39, v17, v51 row_newbcast:5 row_mask:0xf bank_mask:0xf// 0000000023F8: 104E66FA FF015511
	v_mul_u32_u24_dpp v40, v17, v51 row_newbcast:9 row_mask:0xf bank_mask:0xf// 000000002400: 105066FA FF015911
	v_mul_u32_u24_dpp v41, v17, v51 row_newbcast:13 row_mask:0xf bank_mask:0xf// 000000002408: 105266FA FF015D11
	v_add_u32_e32 v34, v38, v7                                 // 000000002410: 68440F26
	v_add_u32_e32 v35, v39, v7                                 // 000000002414: 68460F27
	v_add_u32_e32 v36, v40, v7                                 // 000000002418: 68480F28
	v_add_u32_e32 v37, v41, v7                                 // 00000000241C: 684A0F29
	s_waitcnt lgkmcnt(0)                                       // 000000002420: BF8CC07F
	s_barrier                                                  // 000000002424: BF8A0000
	ds_read_b32 v64, v10 offset:4224                           // 000000002428: D86C1080 4000000A
	ds_read_b32 v65, v10 offset:4288                           // 000000002430: D86C10C0 4100000A
	ds_read_b32 v66, v10 offset:4352                           // 000000002438: D86C1100 4200000A
	ds_read_b32 v67, v10 offset:4416                           // 000000002440: D86C1140 4300000A
	ds_read_b32 v68, v10 offset:4480                           // 000000002448: D86C1180 4400000A
	ds_read_b32 v69, v10 offset:4544                           // 000000002450: D86C11C0 4500000A
	ds_read_b32 v70, v10 offset:4608                           // 000000002458: D86C1200 4600000A
	ds_read_b32 v71, v10 offset:4672                           // 000000002460: D86C1240 4700000A
	ds_read_b32 v72, v10 offset:4736                           // 000000002468: D86C1280 4800000A
	ds_read_b32 v73, v10 offset:4800                           // 000000002470: D86C12C0 4900000A
	ds_read_b32 v74, v10 offset:4864                           // 000000002478: D86C1300 4A00000A
	ds_read_b32 v75, v10 offset:4928                           // 000000002480: D86C1340 4B00000A
	ds_read_b32 v76, v10 offset:4992                           // 000000002488: D86C1380 4C00000A
	ds_read_b32 v77, v10 offset:5056                           // 000000002490: D86C13C0 4D00000A
	ds_read_b32 v78, v10 offset:5120                           // 000000002498: D86C1400 4E00000A
	ds_read_b32 v79, v10 offset:5184                           // 0000000024A0: D86C1440 4F00000A
	buffer_load_dwordx4 a[60:63], v29, s[16:19], 0 offen offset:1024// 0000000024A8: E05C1400 80843C1D
	v_mul_f32_e32 v112, v49, v112                              // 0000000024B0: 0AE0E131
	v_mul_f32_e32 v113, v49, v113                              // 0000000024B4: 0AE2E331
	v_mul_f32_e32 v114, v49, v114                              // 0000000024B8: 0AE4E531
	v_mul_f32_e32 v115, v49, v115                              // 0000000024BC: 0AE6E731
	v_or_b32_dpp v104, v108, v104 row_shr:8 row_mask:0xf bank_mask:0xf bound_ctrl:1// 0000000024C0: 28D0D0FA FF09186C
	v_or_b32_dpp v105, v109, v105 row_shr:8 row_mask:0xf bank_mask:0xf bound_ctrl:1// 0000000024C8: 28D2D2FA FF09186D
	v_or_b32_dpp v106, v110, v106 row_shr:8 row_mask:0xf bank_mask:0xf bound_ctrl:1// 0000000024D0: 28D4D4FA FF09186E
	v_or_b32_dpp v107, v111, v107 row_shr:8 row_mask:0xf bank_mask:0xf bound_ctrl:1// 0000000024D8: 28D6D6FA FF09186F
	s_waitcnt lgkmcnt(0)                                       // 0000000024E0: BF8CC07F
	v_max3_f32 v48, v64, v65, v48                              // 0000000024E4: D1D30030 04C28340
	v_max3_f32 v48, v66, v67, v48                              // 0000000024EC: D1D30030 04C28742
	v_max3_f32 v48, v68, v69, v48                              // 0000000024F4: D1D30030 04C28B44
	v_max3_f32 v48, v70, v71, v48                              // 0000000024FC: D1D30030 04C28F46
	v_max3_f32 v48, v72, v73, v48                              // 000000002504: D1D30030 04C29348
	v_max3_f32 v48, v74, v75, v48                              // 00000000250C: D1D30030 04C2974A
	v_max3_f32 v48, v76, v77, v48                              // 000000002514: D1D30030 04C29B4C
	v_max3_f32 v48, v78, v79, v48                              // 00000000251C: D1D30030 04C29F4E
	buffer_load_dwordx4 a[96:99], v34, s[20:23], 0 offen       // 000000002524: E05C1000 80856022
	v_cmp_eq_u32_e64 s[40:41], v52, v14                        // 00000000252C: D0CA0028 00021D34
	s_nop 1                                                    // 000000002534: BF800001
	v_mov_b32_dpp v38, v48 row_ror:8 row_mask:0xf bank_mask:0xf// 000000002538: 7E4C02FA FF012830
	v_max_f32_e32 v48, v48, v38                                // 000000002540: 16604D30
	v_max_f32_e32 v15, v48, v14                                // 000000002544: 161E1D30
	v_mul_f32_e32 v50, s64, v15                                // 000000002548: 0A641E40
	v_fma_f32 v88, v88, s64, -v50                              // 00000000254C: D1CB0058 84C88158
	v_fma_f32 v89, v89, s64, -v50                              // 000000002554: D1CB0059 84C88159
	v_fma_f32 v90, v90, s64, -v50                              // 00000000255C: D1CB005A 84C8815A
	v_fma_f32 v91, v91, s64, -v50                              // 000000002564: D1CB005B 84C8815B
	v_fma_f32 v92, v92, s64, -v50                              // 00000000256C: D1CB005C 84C8815C
	v_fma_f32 v93, v93, s64, -v50                              // 000000002574: D1CB005D 84C8815D
	v_fma_f32 v94, v94, s64, -v50                              // 00000000257C: D1CB005E 84C8815E
	v_fma_f32 v95, v95, s64, -v50                              // 000000002584: D1CB005F 84C8815F
	buffer_load_dwordx4 a[100:103], v35, s[20:23], 0 offen     // 00000000258C: E05C1000 80856423
	v_exp_f32_e32 v88, v88                                     // 000000002594: 7EB04158
	v_exp_f32_e32 v89, v89                                     // 000000002598: 7EB24159
	v_exp_f32_e32 v90, v90                                     // 00000000259C: 7EB4415A
	v_exp_f32_e32 v91, v91                                     // 0000000025A0: 7EB6415B
	v_exp_f32_e32 v92, v92                                     // 0000000025A4: 7EB8415C
	v_exp_f32_e32 v93, v93                                     // 0000000025A8: 7EBA415D
	v_exp_f32_e32 v94, v94                                     // 0000000025AC: 7EBC415E
	v_exp_f32_e32 v95, v95                                     // 0000000025B0: 7EBE415F
	buffer_load_dwordx4 a[104:107], v36, s[20:23], 0 offen     // 0000000025B4: E05C1000 80856824
	v_mul_f32_dpp v116, v20, v88 quad_perm:[0,0,0,0] row_mask:0xf bank_mask:0xf// 0000000025BC: 0AE8B0FA FF000014
	v_mul_f32_dpp v117, v20, v89 quad_perm:[1,1,1,1] row_mask:0xf bank_mask:0xf// 0000000025C4: 0AEAB2FA FF005514
	v_mul_f32_dpp v118, v20, v90 quad_perm:[2,2,2,2] row_mask:0xf bank_mask:0xf// 0000000025CC: 0AECB4FA FF00AA14
	v_mul_f32_dpp v119, v20, v91 quad_perm:[3,3,3,3] row_mask:0xf bank_mask:0xf// 0000000025D4: 0AEEB6FA FF00FF14
	v_mul_f32_dpp v120, v21, v92 quad_perm:[0,0,0,0] row_mask:0xf bank_mask:0xf// 0000000025DC: 0AF0B8FA FF000015
	v_mul_f32_dpp v121, v21, v93 quad_perm:[1,1,1,1] row_mask:0xf bank_mask:0xf// 0000000025E4: 0AF2BAFA FF005515
	v_mul_f32_dpp v122, v21, v94 quad_perm:[2,2,2,2] row_mask:0xf bank_mask:0xf// 0000000025EC: 0AF4BCFA FF00AA15
	v_mul_f32_dpp v123, v21, v95 quad_perm:[3,3,3,3] row_mask:0xf bank_mask:0xf// 0000000025F4: 0AF6BEFA FF00FF15
	v_mov_b32_e32 v48, 0x358637bd                              // 0000000025FC: 7E6002FF 358637BD
	v_max3_f32 v48, |v116|, |v117|, v48                        // 000000002604: D1D30330 04C2EB74
	v_max3_f32 v48, |v118|, |v119|, v48                        // 00000000260C: D1D30330 04C2EF76
	v_max3_f32 v48, |v120|, |v121|, v48                        // 000000002614: D1D30330 04C2F378
	v_max3_f32 v48, |v122|, |v123|, v48                        // 00000000261C: D1D30330 04C2F77A
	buffer_load_dwordx4 a[108:111], v37, s[20:23], 0 offen     // 000000002624: E05C1000 80856C25
	ds_write_b32 v11, v48 offset:5248                          // 00000000262C: D81A1480 0000300B
	v_sub_f32_e32 v49, v14, v15                                // 000000002634: 04621F0E
	v_cndmask_b32_e64 v49, v49, 0, s[40:41]                    // 000000002638: D1000031 00A10131
	v_mov_b32_e32 v14, v15                                     // 000000002640: 7E1C030F
	v_mul_f32_e32 v49, s64, v49                                // 000000002644: 0A626240
	v_exp_f32_e32 v49, v49                                     // 000000002648: 7E624131
	s_waitcnt lgkmcnt(0)                                       // 00000000264C: BF8CC07F
	s_barrier                                                  // 000000002650: BF8A0000
	ds_read_b32 v64, v10 offset:5248                           // 000000002654: D86C1480 4000000A
	ds_read_b32 v65, v10 offset:5312                           // 00000000265C: D86C14C0 4100000A
	ds_read_b32 v66, v10 offset:5376                           // 000000002664: D86C1500 4200000A
	ds_read_b32 v67, v10 offset:5440                           // 00000000266C: D86C1540 4300000A
	ds_read_b32 v68, v10 offset:5504                           // 000000002674: D86C1580 4400000A
	ds_read_b32 v69, v10 offset:5568                           // 00000000267C: D86C15C0 4500000A
	ds_read_b32 v70, v10 offset:5632                           // 000000002684: D86C1600 4600000A
	ds_read_b32 v71, v10 offset:5696                           // 00000000268C: D86C1640 4700000A
	ds_read_b32 v72, v10 offset:5760                           // 000000002694: D86C1680 4800000A
	ds_read_b32 v73, v10 offset:5824                           // 00000000269C: D86C16C0 4900000A
	ds_read_b32 v74, v10 offset:5888                           // 0000000026A4: D86C1700 4A00000A
	ds_read_b32 v75, v10 offset:5952                           // 0000000026AC: D86C1740 4B00000A
	ds_read_b32 v76, v10 offset:6016                           // 0000000026B4: D86C1780 4C00000A
	ds_read_b32 v77, v10 offset:6080                           // 0000000026BC: D86C17C0 4D00000A
	ds_read_b32 v78, v10 offset:6144                           // 0000000026C4: D86C1800 4E00000A
	ds_read_b32 v79, v10 offset:6208                           // 0000000026CC: D86C1840 4F00000A
	v_mul_f32_e32 v42, v49, v42                                // 0000000026D4: 0A545531
	v_mov_b32_e32 v43, v88                                     // 0000000026D8: 7E560358
	v_add_f32_e32 v43, v89, v43                                // 0000000026DC: 02565759
	v_add_f32_e32 v43, v90, v43                                // 0000000026E0: 0256575A
	v_add_f32_e32 v43, v91, v43                                // 0000000026E4: 0256575B
	v_add_f32_e32 v43, v92, v43                                // 0000000026E8: 0256575C
	v_add_f32_e32 v43, v93, v43                                // 0000000026EC: 0256575D
	v_add_f32_e32 v43, v94, v43                                // 0000000026F0: 0256575E
	v_add_f32_e32 v43, v95, v43                                // 0000000026F4: 0256575F
	v_add_f32_e32 v42, v43, v42                                // 0000000026F8: 0254552B
	s_waitcnt lgkmcnt(0)                                       // 0000000026FC: BF8CC07F
	v_max3_f32 v48, |v64|, |v65|, v48                          // 000000002700: D1D30330 04C28340
	v_max3_f32 v48, |v66|, |v67|, v48                          // 000000002708: D1D30330 04C28742
	v_max3_f32 v48, |v68|, |v69|, v48                          // 000000002710: D1D30330 04C28B44
	v_max3_f32 v48, |v70|, |v71|, v48                          // 000000002718: D1D30330 04C28F46
	v_max3_f32 v48, |v72|, |v73|, v48                          // 000000002720: D1D30330 04C29348
	v_max3_f32 v48, |v74|, |v75|, v48                          // 000000002728: D1D30330 04C2974A
	v_max3_f32 v48, |v76|, |v77|, v48                          // 000000002730: D1D30330 04C29B4C
	v_max3_f32 v48, |v78|, |v79|, v48                          // 000000002738: D1D30330 04C29F4E
	s_nop 2                                                    // 000000002740: BF800002
	v_mov_b32_dpp v38, v48 row_ror:8 row_mask:0xf bank_mask:0xf// 000000002744: 7E4C02FA FF012830
	v_max_f32_e32 v48, v48, v38                                // 00000000274C: 16604D30
	v_rcp_f32_e32 v48, v48                                     // 000000002750: 7E604530
	s_nop 1                                                    // 000000002754: BF800001
	v_mul_f32_e32 v48, 0x43700000, v48                         // 000000002758: 0A6060FF 43700000
	v_mul_f32_e32 v88, v48, v116                               // 000000002760: 0AB0E930
	v_mul_f32_e32 v89, v48, v117                               // 000000002764: 0AB2EB30
	v_mul_f32_e32 v90, v48, v118                               // 000000002768: 0AB4ED30
	v_mul_f32_e32 v91, v48, v119                               // 00000000276C: 0AB6EF30
	v_mul_f32_e32 v92, v48, v120                               // 000000002770: 0AB8F130
	v_mul_f32_e32 v93, v48, v121                               // 000000002774: 0ABAF330
	v_mul_f32_e32 v94, v48, v122                               // 000000002778: 0ABCF530
	v_mul_f32_e32 v95, v48, v123                               // 00000000277C: 0ABEF730
	v_cvt_pk_fp8_f32 v88, v88, v89                             // 000000002780: D2A20058 0002B358
	v_cvt_pk_fp8_f32 v88, v90, v91 op_sel:[0,0,1]              // 000000002788: D2A24058 0002B75A
	v_cvt_pk_fp8_f32 v89, v92, v93                             // 000000002790: D2A20059 0002BB5C
	v_cvt_pk_fp8_f32 v89, v94, v95 op_sel:[0,0,1]              // 000000002798: D2A24059 0002BF5E
	ds_write_b32 v13, v88 offset:6272                          // 0000000027A0: D81A1880 0000580D
	ds_write_b32 v13, v89 offset:7296                          // 0000000027A8: D81A1C80 0000590D
	v_mul_f32_e32 v104, v47, v104                              // 0000000027B0: 0AD0D12F
	v_mul_f32_e32 v105, v47, v105                              // 0000000027B4: 0AD2D32F
	v_mul_f32_e32 v106, v47, v106                              // 0000000027B8: 0AD4D52F
	v_mul_f32_e32 v107, v47, v107                              // 0000000027BC: 0AD6D72F
	v_rcp_f32_e32 v47, v48                                     // 0000000027C0: 7E5E4530
	s_waitcnt lgkmcnt(0)                                       // 0000000027C4: BF8CC07F
	s_barrier                                                  // 0000000027C8: BF8A0000
	ds_read_b64 v[88:89], v12 offset:6272                      // 0000000027CC: D8EC1880 5800000C
	ds_read_b64 v[90:91], v12 offset:6400                      // 0000000027D4: D8EC1900 5A00000C
	ds_read_b64 v[92:93], v12 offset:7296                      // 0000000027DC: D8EC1C80 5C00000C
	ds_read_b64 v[94:95], v12 offset:7424                      // 0000000027E4: D8EC1D00 5E00000C
	v_add_f32_e32 v112, v112, v104                             // 0000000027EC: 02E0D170
	v_add_f32_e32 v113, v113, v105                             // 0000000027F0: 02E2D371
	v_add_f32_e32 v114, v114, v106                             // 0000000027F4: 02E4D572
	v_add_f32_e32 v115, v115, v107                             // 0000000027F8: 02E6D773
	s_waitcnt lgkmcnt(3)                                       // 0000000027FC: BF8CC37F
	v_mov_b32_dpp v96, v88 row_shl:8 row_mask:0xf bank_mask:0xf bound_ctrl:1// 000000002800: 7EC002FA FF090858
	v_and_b32_e32 v88, v88, v9                                 // 000000002808: 26B01358
	v_mov_b32_dpp v97, v89 row_shl:8 row_mask:0xf bank_mask:0xf bound_ctrl:1// 00000000280C: 7EC202FA FF090859
	v_and_b32_e32 v89, v89, v9                                 // 000000002814: 26B21359
	s_waitcnt lgkmcnt(2)                                       // 000000002818: BF8CC27F
	v_mov_b32_dpp v98, v90 row_shl:8 row_mask:0xf bank_mask:0xf bound_ctrl:1// 00000000281C: 7EC402FA FF09085A
	v_and_b32_e32 v90, v90, v9                                 // 000000002824: 26B4135A
	v_mov_b32_dpp v99, v91 row_shl:8 row_mask:0xf bank_mask:0xf bound_ctrl:1// 000000002828: 7EC602FA FF09085B
	v_and_b32_e32 v91, v91, v9                                 // 000000002830: 26B6135B
	s_waitcnt lgkmcnt(1)                                       // 000000002834: BF8CC17F
	v_mov_b32_dpp v100, v92 row_shl:8 row_mask:0xf bank_mask:0xf bound_ctrl:1// 000000002838: 7EC802FA FF09085C
	v_and_b32_e32 v92, v92, v9                                 // 000000002840: 26B8135C
	v_mov_b32_dpp v101, v93 row_shl:8 row_mask:0xf bank_mask:0xf bound_ctrl:1// 000000002844: 7ECA02FA FF09085D
	v_and_b32_e32 v93, v93, v9                                 // 00000000284C: 26BA135D
	s_waitcnt lgkmcnt(0)                                       // 000000002850: BF8CC07F
	v_mov_b32_dpp v102, v94 row_shl:8 row_mask:0xf bank_mask:0xf bound_ctrl:1// 000000002854: 7ECC02FA FF09085E
	v_and_b32_e32 v94, v94, v9                                 // 00000000285C: 26BC135E
	v_mov_b32_dpp v103, v95 row_shl:8 row_mask:0xf bank_mask:0xf bound_ctrl:1// 000000002860: 7ECE02FA FF09085F
	v_and_b32_e32 v95, v95, v9                                 // 000000002868: 26BE135F
	s_waitcnt vmcnt(15)                                        // 00000000286C: BF8C0F7F
	v_mfma_f32_16x16x32_fp8_fp8 v[104:107], a[64:65], v[88:89], 0// 000000002870: D3F30068 0A02B140
	v_mfma_f32_16x16x32_fp8_fp8 v[104:107], a[66:67], v[90:91], v[104:107]// 000000002878: D3F30068 0DA2B542
	buffer_load_dwordx4 a[112:115], v34, s[20:23], 0 offen offset:1024// 000000002880: E05C1400 80857022
	v_mfma_f32_16x16x32_fp8_fp8 v[104:107], a[68:69], v[92:93], v[104:107]// 000000002888: D3F30068 0DA2B944
	v_mfma_f32_16x16x32_fp8_fp8 v[104:107], a[70:71], v[94:95], v[104:107]// 000000002890: D3F30068 0DA2BD46
	v_mfma_f32_16x16x32_fp8_fp8 v[104:107], a[72:73], v[96:97], v[104:107]// 000000002898: D3F30068 0DA2C148
	v_mfma_f32_16x16x32_fp8_fp8 v[104:107], a[74:75], v[98:99], v[104:107]// 0000000028A0: D3F30068 0DA2C54A
	buffer_load_dwordx4 a[116:119], v35, s[20:23], 0 offen offset:1024// 0000000028A8: E05C1400 80857423
	v_mfma_f32_16x16x32_fp8_fp8 v[104:107], a[76:77], v[100:101], v[104:107]// 0000000028B0: D3F30068 0DA2C94C
	v_mfma_f32_16x16x32_fp8_fp8 v[104:107], a[78:79], v[102:103], v[104:107]// 0000000028B8: D3F30068 0DA2CD4E
	v_mfma_f32_16x16x32_fp8_fp8 v[108:111], a[80:81], v[88:89], 0// 0000000028C0: D3F3006C 0A02B150
	v_mfma_f32_16x16x32_fp8_fp8 v[108:111], a[82:83], v[90:91], v[108:111]// 0000000028C8: D3F3006C 0DB2B552
	buffer_load_dwordx4 a[120:123], v36, s[20:23], 0 offen offset:1024// 0000000028D0: E05C1400 80857824
	v_mfma_f32_16x16x32_fp8_fp8 v[108:111], a[84:85], v[92:93], v[108:111]// 0000000028D8: D3F3006C 0DB2B954
	v_mfma_f32_16x16x32_fp8_fp8 v[108:111], a[86:87], v[94:95], v[108:111]// 0000000028E0: D3F3006C 0DB2BD56
	v_mfma_f32_16x16x32_fp8_fp8 v[108:111], a[88:89], v[96:97], v[108:111]// 0000000028E8: D3F3006C 0DB2C158
	v_mfma_f32_16x16x32_fp8_fp8 v[108:111], a[90:91], v[98:99], v[108:111]// 0000000028F0: D3F3006C 0DB2C55A
	buffer_load_dwordx4 a[124:127], v37, s[20:23], 0 offen offset:1024// 0000000028F8: E05C1400 80857C25
	v_mfma_f32_16x16x32_fp8_fp8 v[108:111], a[92:93], v[100:101], v[108:111]// 000000002900: D3F3006C 0DB2C95C
	s_lshr_b32 s57, s70, 4                                     // 000000002908: 8F398446
	s_add_u32 s57, 48, s57                                     // 00000000290C: 803939B0
	v_mfma_f32_16x16x32_fp8_fp8 v[108:111], a[94:95], v[102:103], v[108:111]// 000000002910: D3F3006C 0DB2CD5E
	s_cmp_ge_u32 s57, s73                                      // 000000002918: BF094939
	s_cselect_b32 s56, 0, s56                                  // 00000000291C: 85383880
	v_add_u32_e32 v1, s56, v1                                  // 000000002920: 68020238
	s_addk_i32 s70, 0x100                                      // 000000002924: B7460100
	s_cmp_lt_i32 s70, s71                                      // 000000002928: BF044746
	s_cbranch_scc0 label_05A9                                  // 00000000292C: BF8401DB
	s_waitcnt vmcnt(8) lgkmcnt(0)                              // 000000002930: BF8C0078
	v_mul_u32_u24_dpp v38, v16, v51 row_newbcast:0 row_mask:0xf bank_mask:0xf// 000000002934: 104C66FA FF015010
	v_mul_u32_u24_dpp v39, v16, v51 row_newbcast:4 row_mask:0xf bank_mask:0xf// 00000000293C: 104E66FA FF015410
	v_mul_u32_u24_dpp v40, v16, v51 row_newbcast:8 row_mask:0xf bank_mask:0xf// 000000002944: 105066FA FF015810
	v_mul_u32_u24_dpp v41, v16, v51 row_newbcast:12 row_mask:0xf bank_mask:0xf// 00000000294C: 105266FA FF015C10
	v_add_u32_e32 v22, v38, v6                                 // 000000002954: 682C0D26
	v_add_u32_e32 v23, v39, v6                                 // 000000002958: 682E0D27
	v_add_u32_e32 v24, v40, v6                                 // 00000000295C: 68300D28
	v_add_u32_e32 v25, v41, v6                                 // 000000002960: 68320D29
	v_mul_u32_u24_dpp v38, v16, v61 quad_perm:[0,0,0,0] row_mask:0xf bank_mask:0xf// 000000002964: 104C7AFA FF000010
	v_add_u32_e32 v2, v38, v57                                 // 00000000296C: 68047326
	v_mul_u32_u24_dpp v38, v16, v61 quad_perm:[0,0,0,0] row_mask:0xf bank_mask:0xf// 000000002970: 104C7AFA FF000010
	v_add_u32_e32 v53, v38, v58                                // 000000002978: 686A7526
	v_mfma_f32_16x16x32_fp8_fp8 v[88:91], a[32:33], v[80:81], 0// 00000000297C: D3F30058 0A02A120
	v_mfma_f32_16x16x32_fp8_fp8 v[88:91], a[34:35], v[82:83], v[88:91]// 000000002984: D3F30058 0D62A522
	buffer_load_dwordx4 a[0:3], v22, s[16:19], 0 offen         // 00000000298C: E05C1000 80840016
	v_mfma_f32_16x16x32_fp8_fp8 v[88:91], a[36:37], v[84:85], v[88:91]// 000000002994: D3F30058 0D62A924
	v_mfma_f32_16x16x32_fp8_fp8 v[88:91], a[38:39], v[86:87], v[88:91]// 00000000299C: D3F30058 0D62AD26
	buffer_load_dword v17, v1, s[24:27], 0 offen               // 0000000029A4: E0501000 80061101
	v_mfma_f32_16x16x32_fp8_fp8 v[92:95], a[40:41], v[80:81], 0// 0000000029AC: D3F3005C 0A02A128
	v_mfma_f32_16x16x32_fp8_fp8 v[92:95], a[42:43], v[82:83], v[92:95]// 0000000029B4: D3F3005C 0D72A52A
	buffer_load_dwordx4 a[4:7], v22, s[16:19], 0 offen offset:1024// 0000000029BC: E05C1400 80840416
	v_mfma_f32_16x16x32_fp8_fp8 v[92:95], a[44:45], v[84:85], v[92:95]// 0000000029C4: D3F3005C 0D72A92C
	v_mfma_f32_16x16x32_fp8_fp8 v[92:95], a[46:47], v[86:87], v[92:95]// 0000000029CC: D3F3005C 0D72AD2E
	v_mfma_f32_16x16x32_fp8_fp8 v[96:99], a[48:49], v[80:81], 0// 0000000029D4: D3F30060 0A02A130
	v_mfma_f32_16x16x32_fp8_fp8 v[96:99], a[50:51], v[82:83], v[96:99]// 0000000029DC: D3F30060 0D82A532
	buffer_load_dwordx4 a[8:11], v23, s[16:19], 0 offen        // 0000000029E4: E05C1000 80840817
	v_mfma_f32_16x16x32_fp8_fp8 v[96:99], a[52:53], v[84:85], v[96:99]// 0000000029EC: D3F30060 0D82A934
	v_mfma_f32_16x16x32_fp8_fp8 v[96:99], a[54:55], v[86:87], v[96:99]// 0000000029F4: D3F30060 0D82AD36
	v_mfma_f32_16x16x32_fp8_fp8 v[100:103], a[56:57], v[80:81], 0// 0000000029FC: D3F30064 0A02A138
	v_mfma_f32_16x16x32_fp8_fp8 v[100:103], a[58:59], v[82:83], v[100:103]// 000000002A04: D3F30064 0D92A53A
	buffer_load_dwordx4 a[12:15], v23, s[16:19], 0 offen offset:1024// 000000002A0C: E05C1400 80840C17
	v_mfma_f32_16x16x32_fp8_fp8 v[100:103], a[60:61], v[84:85], v[100:103]// 000000002A14: D3F30064 0D92A93C
	v_mfma_f32_16x16x32_fp8_fp8 v[100:103], a[62:63], v[86:87], v[100:103]// 000000002A1C: D3F30064 0D92AD3E
	buffer_load_dword v44, v2, s[32:35], 0 offen               // 000000002A24: E0501000 80082C02
	v_mov_b32_dpp v38, v45 row_shr:4 row_mask:0xf bank_mask:0xf// 000000002A2C: 7E4C02FA FF01142D
	v_mov_b32_dpp v39, v45 row_shl:4 row_mask:0xf bank_mask:0xf// 000000002A34: 7E4E02FA FF01042D
	v_cndmask_b32_e64 v18, v45, v38, s[44:45]                  // 000000002A3C: D1000012 00B24D2D
	v_cndmask_b32_e64 v19, v39, v45, s[44:45]                  // 000000002A44: D1000013 00B25B27
	v_mov_b32_dpp v38, v56 row_shr:4 row_mask:0xf bank_mask:0xf// 000000002A4C: 7E4C02FA FF011438
	v_mov_b32_dpp v39, v56 row_shl:4 row_mask:0xf bank_mask:0xf// 000000002A54: 7E4E02FA FF010438
	v_cndmask_b32_e64 v20, v56, v38, s[44:45]                  // 000000002A5C: D1000014 00B24D38
	v_cndmask_b32_e64 v21, v39, v56, s[44:45]                  // 000000002A64: D1000015 00B27127
	v_or_b32_dpp v88, v96, v88 row_shr:8 row_mask:0xf bank_mask:0xf bound_ctrl:1// 000000002A6C: 28B0B0FA FF091860
	v_or_b32_dpp v89, v97, v89 row_shr:8 row_mask:0xf bank_mask:0xf bound_ctrl:1// 000000002A74: 28B2B2FA FF091861
	v_or_b32_dpp v90, v98, v90 row_shr:8 row_mask:0xf bank_mask:0xf bound_ctrl:1// 000000002A7C: 28B4B4FA FF091862
	v_or_b32_dpp v91, v99, v91 row_shr:8 row_mask:0xf bank_mask:0xf bound_ctrl:1// 000000002A84: 28B6B6FA FF091863
	v_or_b32_dpp v92, v100, v92 row_shr:8 row_mask:0xf bank_mask:0xf bound_ctrl:1// 000000002A8C: 28B8B8FA FF091864
	v_or_b32_dpp v93, v101, v93 row_shr:8 row_mask:0xf bank_mask:0xf bound_ctrl:1// 000000002A94: 28BABAFA FF091865
	v_or_b32_dpp v94, v102, v94 row_shr:8 row_mask:0xf bank_mask:0xf bound_ctrl:1// 000000002A9C: 28BCBCFA FF091866
	v_or_b32_dpp v95, v103, v95 row_shr:8 row_mask:0xf bank_mask:0xf bound_ctrl:1// 000000002AA4: 28BEBEFA FF091867
	buffer_load_dword v55, v53, s[36:39], 0 offen              // 000000002AAC: E0501000 80093735
	v_mul_f32_e32 v88, v46, v88                                // 000000002AB4: 0AB0B12E
	v_mul_f32_e32 v89, v46, v89                                // 000000002AB8: 0AB2B32E
	v_mul_f32_e32 v90, v46, v90                                // 000000002ABC: 0AB4B52E
	v_mul_f32_e32 v91, v46, v91                                // 000000002AC0: 0AB6B72E
	v_mul_f32_e32 v92, v46, v92                                // 000000002AC4: 0AB8B92E
	v_mul_f32_e32 v93, v46, v93                                // 000000002AC8: 0ABABB2E
	v_mul_f32_e32 v94, v46, v94                                // 000000002ACC: 0ABCBD2E
	v_mul_f32_e32 v95, v46, v95                                // 000000002AD0: 0ABEBF2E
	buffer_load_dwordx4 a[16:19], v24, s[16:19], 0 offen       // 000000002AD4: E05C1000 80841018
	v_mul_f32_dpp v88, v18, v88 quad_perm:[0,0,0,0] row_mask:0xf bank_mask:0xf// 000000002ADC: 0AB0B0FA FF000012
	v_mul_f32_dpp v89, v18, v89 quad_perm:[1,1,1,1] row_mask:0xf bank_mask:0xf// 000000002AE4: 0AB2B2FA FF005512
	v_mul_f32_dpp v90, v18, v90 quad_perm:[2,2,2,2] row_mask:0xf bank_mask:0xf// 000000002AEC: 0AB4B4FA FF00AA12
	v_mul_f32_dpp v91, v18, v91 quad_perm:[3,3,3,3] row_mask:0xf bank_mask:0xf// 000000002AF4: 0AB6B6FA FF00FF12
	v_mul_f32_dpp v92, v19, v92 quad_perm:[0,0,0,0] row_mask:0xf bank_mask:0xf// 000000002AFC: 0AB8B8FA FF000013
	v_mul_f32_dpp v93, v19, v93 quad_perm:[1,1,1,1] row_mask:0xf bank_mask:0xf// 000000002B04: 0ABABAFA FF005513
	v_mul_f32_dpp v94, v19, v94 quad_perm:[2,2,2,2] row_mask:0xf bank_mask:0xf// 000000002B0C: 0ABCBCFA FF00AA13
	v_mul_f32_dpp v95, v19, v95 quad_perm:[3,3,3,3] row_mask:0xf bank_mask:0xf// 000000002B14: 0ABEBEFA FF00FF13
	buffer_load_dwordx4 a[20:23], v24, s[16:19], 0 offen offset:1024// 000000002B1C: E05C1400 80841418
	v_mov_b32_e32 v48, v88                                     // 000000002B24: 7E600358
	v_max3_f32 v48, v88, v89, v48                              // 000000002B28: D1D30030 04C2B358
	v_max3_f32 v48, v90, v91, v48                              // 000000002B30: D1D30030 04C2B75A
	v_max3_f32 v48, v92, v93, v48                              // 000000002B38: D1D30030 04C2BB5C
	v_max3_f32 v48, v94, v95, v48                              // 000000002B40: D1D30030 04C2BF5E
	ds_write_b32 v11, v48 offset:4224                          // 000000002B48: D81A1080 0000300B
	buffer_load_dwordx4 a[24:27], v25, s[16:19], 0 offen       // 000000002B50: E05C1000 80841819
	v_mul_u32_u24_dpp v38, v16, v51 row_newbcast:1 row_mask:0xf bank_mask:0xf// 000000002B58: 104C66FA FF015110
	v_mul_u32_u24_dpp v39, v16, v51 row_newbcast:5 row_mask:0xf bank_mask:0xf// 000000002B60: 104E66FA FF015510
	v_mul_u32_u24_dpp v40, v16, v51 row_newbcast:9 row_mask:0xf bank_mask:0xf// 000000002B68: 105066FA FF015910
	v_mul_u32_u24_dpp v41, v16, v51 row_newbcast:13 row_mask:0xf bank_mask:0xf// 000000002B70: 105266FA FF015D10
	v_add_u32_e32 v30, v38, v7                                 // 000000002B78: 683C0F26
	v_add_u32_e32 v31, v39, v7                                 // 000000002B7C: 683E0F27
	v_add_u32_e32 v32, v40, v7                                 // 000000002B80: 68400F28
	v_add_u32_e32 v33, v41, v7                                 // 000000002B84: 68420F29
	s_waitcnt lgkmcnt(0)                                       // 000000002B88: BF8CC07F
	s_barrier                                                  // 000000002B8C: BF8A0000
	ds_read_b32 v64, v10 offset:4224                           // 000000002B90: D86C1080 4000000A
	ds_read_b32 v65, v10 offset:4288                           // 000000002B98: D86C10C0 4100000A
	ds_read_b32 v66, v10 offset:4352                           // 000000002BA0: D86C1100 4200000A
	ds_read_b32 v67, v10 offset:4416                           // 000000002BA8: D86C1140 4300000A
	ds_read_b32 v68, v10 offset:4480                           // 000000002BB0: D86C1180 4400000A
	ds_read_b32 v69, v10 offset:4544                           // 000000002BB8: D86C11C0 4500000A
	ds_read_b32 v70, v10 offset:4608                           // 000000002BC0: D86C1200 4600000A
	ds_read_b32 v71, v10 offset:4672                           // 000000002BC8: D86C1240 4700000A
	ds_read_b32 v72, v10 offset:4736                           // 000000002BD0: D86C1280 4800000A
	ds_read_b32 v73, v10 offset:4800                           // 000000002BD8: D86C12C0 4900000A
	ds_read_b32 v74, v10 offset:4864                           // 000000002BE0: D86C1300 4A00000A
	ds_read_b32 v75, v10 offset:4928                           // 000000002BE8: D86C1340 4B00000A
	ds_read_b32 v76, v10 offset:4992                           // 000000002BF0: D86C1380 4C00000A
	ds_read_b32 v77, v10 offset:5056                           // 000000002BF8: D86C13C0 4D00000A
	ds_read_b32 v78, v10 offset:5120                           // 000000002C00: D86C1400 4E00000A
	ds_read_b32 v79, v10 offset:5184                           // 000000002C08: D86C1440 4F00000A
	buffer_load_dwordx4 a[28:31], v25, s[16:19], 0 offen offset:1024// 000000002C10: E05C1400 80841C19
	v_mul_f32_e32 v112, v49, v112                              // 000000002C18: 0AE0E131
	v_mul_f32_e32 v113, v49, v113                              // 000000002C1C: 0AE2E331
	v_mul_f32_e32 v114, v49, v114                              // 000000002C20: 0AE4E531
	v_mul_f32_e32 v115, v49, v115                              // 000000002C24: 0AE6E731
	v_or_b32_dpp v104, v108, v104 row_shr:8 row_mask:0xf bank_mask:0xf bound_ctrl:1// 000000002C28: 28D0D0FA FF09186C
	v_or_b32_dpp v105, v109, v105 row_shr:8 row_mask:0xf bank_mask:0xf bound_ctrl:1// 000000002C30: 28D2D2FA FF09186D
	v_or_b32_dpp v106, v110, v106 row_shr:8 row_mask:0xf bank_mask:0xf bound_ctrl:1// 000000002C38: 28D4D4FA FF09186E
	v_or_b32_dpp v107, v111, v107 row_shr:8 row_mask:0xf bank_mask:0xf bound_ctrl:1// 000000002C40: 28D6D6FA FF09186F
	s_waitcnt lgkmcnt(0)                                       // 000000002C48: BF8CC07F
	v_max3_f32 v48, v64, v65, v48                              // 000000002C4C: D1D30030 04C28340
	v_max3_f32 v48, v66, v67, v48                              // 000000002C54: D1D30030 04C28742
	v_max3_f32 v48, v68, v69, v48                              // 000000002C5C: D1D30030 04C28B44
	v_max3_f32 v48, v70, v71, v48                              // 000000002C64: D1D30030 04C28F46
	v_max3_f32 v48, v72, v73, v48                              // 000000002C6C: D1D30030 04C29348
	v_max3_f32 v48, v74, v75, v48                              // 000000002C74: D1D30030 04C2974A
	v_max3_f32 v48, v76, v77, v48                              // 000000002C7C: D1D30030 04C29B4C
	v_max3_f32 v48, v78, v79, v48                              // 000000002C84: D1D30030 04C29F4E
	buffer_load_dwordx4 a[64:67], v30, s[20:23], 0 offen       // 000000002C8C: E05C1000 8085401E
	v_cmp_eq_u32_e64 s[40:41], v52, v14                        // 000000002C94: D0CA0028 00021D34
	s_nop 1                                                    // 000000002C9C: BF800001
	v_mov_b32_dpp v38, v48 row_ror:8 row_mask:0xf bank_mask:0xf// 000000002CA0: 7E4C02FA FF012830
	v_max_f32_e32 v48, v48, v38                                // 000000002CA8: 16604D30
	v_max_f32_e32 v15, v48, v14                                // 000000002CAC: 161E1D30
	v_mul_f32_e32 v50, s64, v15                                // 000000002CB0: 0A641E40
	v_fma_f32 v88, v88, s64, -v50                              // 000000002CB4: D1CB0058 84C88158
	v_fma_f32 v89, v89, s64, -v50                              // 000000002CBC: D1CB0059 84C88159
	v_fma_f32 v90, v90, s64, -v50                              // 000000002CC4: D1CB005A 84C8815A
	v_fma_f32 v91, v91, s64, -v50                              // 000000002CCC: D1CB005B 84C8815B
	v_fma_f32 v92, v92, s64, -v50                              // 000000002CD4: D1CB005C 84C8815C
	v_fma_f32 v93, v93, s64, -v50                              // 000000002CDC: D1CB005D 84C8815D
	v_fma_f32 v94, v94, s64, -v50                              // 000000002CE4: D1CB005E 84C8815E
	v_fma_f32 v95, v95, s64, -v50                              // 000000002CEC: D1CB005F 84C8815F
	buffer_load_dwordx4 a[68:71], v31, s[20:23], 0 offen       // 000000002CF4: E05C1000 8085441F
	v_exp_f32_e32 v88, v88                                     // 000000002CFC: 7EB04158
	v_exp_f32_e32 v89, v89                                     // 000000002D00: 7EB24159
	v_exp_f32_e32 v90, v90                                     // 000000002D04: 7EB4415A
	v_exp_f32_e32 v91, v91                                     // 000000002D08: 7EB6415B
	v_exp_f32_e32 v92, v92                                     // 000000002D0C: 7EB8415C
	v_exp_f32_e32 v93, v93                                     // 000000002D10: 7EBA415D
	v_exp_f32_e32 v94, v94                                     // 000000002D14: 7EBC415E
	v_exp_f32_e32 v95, v95                                     // 000000002D18: 7EBE415F
	buffer_load_dwordx4 a[72:75], v32, s[20:23], 0 offen       // 000000002D1C: E05C1000 80854820
	v_mul_f32_dpp v116, v20, v88 quad_perm:[0,0,0,0] row_mask:0xf bank_mask:0xf// 000000002D24: 0AE8B0FA FF000014
	v_mul_f32_dpp v117, v20, v89 quad_perm:[1,1,1,1] row_mask:0xf bank_mask:0xf// 000000002D2C: 0AEAB2FA FF005514
	v_mul_f32_dpp v118, v20, v90 quad_perm:[2,2,2,2] row_mask:0xf bank_mask:0xf// 000000002D34: 0AECB4FA FF00AA14
	v_mul_f32_dpp v119, v20, v91 quad_perm:[3,3,3,3] row_mask:0xf bank_mask:0xf// 000000002D3C: 0AEEB6FA FF00FF14
	v_mul_f32_dpp v120, v21, v92 quad_perm:[0,0,0,0] row_mask:0xf bank_mask:0xf// 000000002D44: 0AF0B8FA FF000015
	v_mul_f32_dpp v121, v21, v93 quad_perm:[1,1,1,1] row_mask:0xf bank_mask:0xf// 000000002D4C: 0AF2BAFA FF005515
	v_mul_f32_dpp v122, v21, v94 quad_perm:[2,2,2,2] row_mask:0xf bank_mask:0xf// 000000002D54: 0AF4BCFA FF00AA15
	v_mul_f32_dpp v123, v21, v95 quad_perm:[3,3,3,3] row_mask:0xf bank_mask:0xf// 000000002D5C: 0AF6BEFA FF00FF15
	v_mov_b32_e32 v48, 0x358637bd                              // 000000002D64: 7E6002FF 358637BD
	v_max3_f32 v48, |v116|, |v117|, v48                        // 000000002D6C: D1D30330 04C2EB74
	v_max3_f32 v48, |v118|, |v119|, v48                        // 000000002D74: D1D30330 04C2EF76
	v_max3_f32 v48, |v120|, |v121|, v48                        // 000000002D7C: D1D30330 04C2F378
	v_max3_f32 v48, |v122|, |v123|, v48                        // 000000002D84: D1D30330 04C2F77A
	buffer_load_dwordx4 a[76:79], v33, s[20:23], 0 offen       // 000000002D8C: E05C1000 80854C21
	ds_write_b32 v11, v48 offset:5248                          // 000000002D94: D81A1480 0000300B
	v_sub_f32_e32 v49, v14, v15                                // 000000002D9C: 04621F0E
	v_cndmask_b32_e64 v49, v49, 0, s[40:41]                    // 000000002DA0: D1000031 00A10131
	v_mov_b32_e32 v14, v15                                     // 000000002DA8: 7E1C030F
	v_mul_f32_e32 v49, s64, v49                                // 000000002DAC: 0A626240
	v_exp_f32_e32 v49, v49                                     // 000000002DB0: 7E624131
	s_waitcnt lgkmcnt(0)                                       // 000000002DB4: BF8CC07F
	s_barrier                                                  // 000000002DB8: BF8A0000
	ds_read_b32 v64, v10 offset:5248                           // 000000002DBC: D86C1480 4000000A
	ds_read_b32 v65, v10 offset:5312                           // 000000002DC4: D86C14C0 4100000A
	ds_read_b32 v66, v10 offset:5376                           // 000000002DCC: D86C1500 4200000A
	ds_read_b32 v67, v10 offset:5440                           // 000000002DD4: D86C1540 4300000A
	ds_read_b32 v68, v10 offset:5504                           // 000000002DDC: D86C1580 4400000A
	ds_read_b32 v69, v10 offset:5568                           // 000000002DE4: D86C15C0 4500000A
	ds_read_b32 v70, v10 offset:5632                           // 000000002DEC: D86C1600 4600000A
	ds_read_b32 v71, v10 offset:5696                           // 000000002DF4: D86C1640 4700000A
	ds_read_b32 v72, v10 offset:5760                           // 000000002DFC: D86C1680 4800000A
	ds_read_b32 v73, v10 offset:5824                           // 000000002E04: D86C16C0 4900000A
	ds_read_b32 v74, v10 offset:5888                           // 000000002E0C: D86C1700 4A00000A
	ds_read_b32 v75, v10 offset:5952                           // 000000002E14: D86C1740 4B00000A
	ds_read_b32 v76, v10 offset:6016                           // 000000002E1C: D86C1780 4C00000A
	ds_read_b32 v77, v10 offset:6080                           // 000000002E24: D86C17C0 4D00000A
	ds_read_b32 v78, v10 offset:6144                           // 000000002E2C: D86C1800 4E00000A
	ds_read_b32 v79, v10 offset:6208                           // 000000002E34: D86C1840 4F00000A
	v_mul_f32_e32 v42, v49, v42                                // 000000002E3C: 0A545531
	v_mov_b32_e32 v43, v88                                     // 000000002E40: 7E560358
	v_add_f32_e32 v43, v89, v43                                // 000000002E44: 02565759
	v_add_f32_e32 v43, v90, v43                                // 000000002E48: 0256575A
	v_add_f32_e32 v43, v91, v43                                // 000000002E4C: 0256575B
	v_add_f32_e32 v43, v92, v43                                // 000000002E50: 0256575C
	v_add_f32_e32 v43, v93, v43                                // 000000002E54: 0256575D
	v_add_f32_e32 v43, v94, v43                                // 000000002E58: 0256575E
	v_add_f32_e32 v43, v95, v43                                // 000000002E5C: 0256575F
	v_add_f32_e32 v42, v43, v42                                // 000000002E60: 0254552B
	s_waitcnt lgkmcnt(0)                                       // 000000002E64: BF8CC07F
	v_max3_f32 v48, |v64|, |v65|, v48                          // 000000002E68: D1D30330 04C28340
	v_max3_f32 v48, |v66|, |v67|, v48                          // 000000002E70: D1D30330 04C28742
	v_max3_f32 v48, |v68|, |v69|, v48                          // 000000002E78: D1D30330 04C28B44
	v_max3_f32 v48, |v70|, |v71|, v48                          // 000000002E80: D1D30330 04C28F46
	v_max3_f32 v48, |v72|, |v73|, v48                          // 000000002E88: D1D30330 04C29348
	v_max3_f32 v48, |v74|, |v75|, v48                          // 000000002E90: D1D30330 04C2974A
	v_max3_f32 v48, |v76|, |v77|, v48                          // 000000002E98: D1D30330 04C29B4C
	v_max3_f32 v48, |v78|, |v79|, v48                          // 000000002EA0: D1D30330 04C29F4E
	s_nop 2                                                    // 000000002EA8: BF800002
	v_mov_b32_dpp v38, v48 row_ror:8 row_mask:0xf bank_mask:0xf// 000000002EAC: 7E4C02FA FF012830
	v_max_f32_e32 v48, v48, v38                                // 000000002EB4: 16604D30
	v_rcp_f32_e32 v48, v48                                     // 000000002EB8: 7E604530
	s_nop 1                                                    // 000000002EBC: BF800001
	v_mul_f32_e32 v48, 0x43700000, v48                         // 000000002EC0: 0A6060FF 43700000
	v_mul_f32_e32 v88, v48, v116                               // 000000002EC8: 0AB0E930
	v_mul_f32_e32 v89, v48, v117                               // 000000002ECC: 0AB2EB30
	v_mul_f32_e32 v90, v48, v118                               // 000000002ED0: 0AB4ED30
	v_mul_f32_e32 v91, v48, v119                               // 000000002ED4: 0AB6EF30
	v_mul_f32_e32 v92, v48, v120                               // 000000002ED8: 0AB8F130
	v_mul_f32_e32 v93, v48, v121                               // 000000002EDC: 0ABAF330
	v_mul_f32_e32 v94, v48, v122                               // 000000002EE0: 0ABCF530
	v_mul_f32_e32 v95, v48, v123                               // 000000002EE4: 0ABEF730
	v_cvt_pk_fp8_f32 v88, v88, v89                             // 000000002EE8: D2A20058 0002B358
	v_cvt_pk_fp8_f32 v88, v90, v91 op_sel:[0,0,1]              // 000000002EF0: D2A24058 0002B75A
	v_cvt_pk_fp8_f32 v89, v92, v93                             // 000000002EF8: D2A20059 0002BB5C
	v_cvt_pk_fp8_f32 v89, v94, v95 op_sel:[0,0,1]              // 000000002F00: D2A24059 0002BF5E
	ds_write_b32 v13, v88 offset:6272                          // 000000002F08: D81A1880 0000580D
	ds_write_b32 v13, v89 offset:7296                          // 000000002F10: D81A1C80 0000590D
	v_mul_f32_e32 v104, v47, v104                              // 000000002F18: 0AD0D12F
	v_mul_f32_e32 v105, v47, v105                              // 000000002F1C: 0AD2D32F
	v_mul_f32_e32 v106, v47, v106                              // 000000002F20: 0AD4D52F
	v_mul_f32_e32 v107, v47, v107                              // 000000002F24: 0AD6D72F
	v_rcp_f32_e32 v47, v48                                     // 000000002F28: 7E5E4530
	s_waitcnt lgkmcnt(0)                                       // 000000002F2C: BF8CC07F
	s_barrier                                                  // 000000002F30: BF8A0000
	ds_read_b64 v[88:89], v12 offset:6272                      // 000000002F34: D8EC1880 5800000C
	ds_read_b64 v[90:91], v12 offset:6400                      // 000000002F3C: D8EC1900 5A00000C
	ds_read_b64 v[92:93], v12 offset:7296                      // 000000002F44: D8EC1C80 5C00000C
	ds_read_b64 v[94:95], v12 offset:7424                      // 000000002F4C: D8EC1D00 5E00000C
	v_add_f32_e32 v112, v112, v104                             // 000000002F54: 02E0D170
	v_add_f32_e32 v113, v113, v105                             // 000000002F58: 02E2D371
	v_add_f32_e32 v114, v114, v106                             // 000000002F5C: 02E4D572
	v_add_f32_e32 v115, v115, v107                             // 000000002F60: 02E6D773
	s_waitcnt lgkmcnt(3)                                       // 000000002F64: BF8CC37F
	v_mov_b32_dpp v96, v88 row_shl:8 row_mask:0xf bank_mask:0xf bound_ctrl:1// 000000002F68: 7EC002FA FF090858
	v_and_b32_e32 v88, v88, v9                                 // 000000002F70: 26B01358
	v_mov_b32_dpp v97, v89 row_shl:8 row_mask:0xf bank_mask:0xf bound_ctrl:1// 000000002F74: 7EC202FA FF090859
	v_and_b32_e32 v89, v89, v9                                 // 000000002F7C: 26B21359
	s_waitcnt lgkmcnt(2)                                       // 000000002F80: BF8CC27F
	v_mov_b32_dpp v98, v90 row_shl:8 row_mask:0xf bank_mask:0xf bound_ctrl:1// 000000002F84: 7EC402FA FF09085A
	v_and_b32_e32 v90, v90, v9                                 // 000000002F8C: 26B4135A
	v_mov_b32_dpp v99, v91 row_shl:8 row_mask:0xf bank_mask:0xf bound_ctrl:1// 000000002F90: 7EC602FA FF09085B
	v_and_b32_e32 v91, v91, v9                                 // 000000002F98: 26B6135B
	s_waitcnt lgkmcnt(1)                                       // 000000002F9C: BF8CC17F
	v_mov_b32_dpp v100, v92 row_shl:8 row_mask:0xf bank_mask:0xf bound_ctrl:1// 000000002FA0: 7EC802FA FF09085C
	v_and_b32_e32 v92, v92, v9                                 // 000000002FA8: 26B8135C
	v_mov_b32_dpp v101, v93 row_shl:8 row_mask:0xf bank_mask:0xf bound_ctrl:1// 000000002FAC: 7ECA02FA FF09085D
	v_and_b32_e32 v93, v93, v9                                 // 000000002FB4: 26BA135D
	s_waitcnt lgkmcnt(0)                                       // 000000002FB8: BF8CC07F
	v_mov_b32_dpp v102, v94 row_shl:8 row_mask:0xf bank_mask:0xf bound_ctrl:1// 000000002FBC: 7ECC02FA FF09085E
	v_and_b32_e32 v94, v94, v9                                 // 000000002FC4: 26BC135E
	v_mov_b32_dpp v103, v95 row_shl:8 row_mask:0xf bank_mask:0xf bound_ctrl:1// 000000002FC8: 7ECE02FA FF09085F
	v_and_b32_e32 v95, v95, v9                                 // 000000002FD0: 26BE135F
	s_waitcnt vmcnt(15)                                        // 000000002FD4: BF8C0F7F
	v_mfma_f32_16x16x32_fp8_fp8 v[104:107], a[96:97], v[88:89], 0// 000000002FD8: D3F30068 0A02B160
	v_mfma_f32_16x16x32_fp8_fp8 v[104:107], a[98:99], v[90:91], v[104:107]// 000000002FE0: D3F30068 0DA2B562
	buffer_load_dwordx4 a[80:83], v30, s[20:23], 0 offen offset:1024// 000000002FE8: E05C1400 8085501E
	v_mfma_f32_16x16x32_fp8_fp8 v[104:107], a[100:101], v[92:93], v[104:107]// 000000002FF0: D3F30068 0DA2B964
	v_mfma_f32_16x16x32_fp8_fp8 v[104:107], a[102:103], v[94:95], v[104:107]// 000000002FF8: D3F30068 0DA2BD66
	v_mfma_f32_16x16x32_fp8_fp8 v[104:107], a[104:105], v[96:97], v[104:107]// 000000003000: D3F30068 0DA2C168
	v_mfma_f32_16x16x32_fp8_fp8 v[104:107], a[106:107], v[98:99], v[104:107]// 000000003008: D3F30068 0DA2C56A
	buffer_load_dwordx4 a[84:87], v31, s[20:23], 0 offen offset:1024// 000000003010: E05C1400 8085541F
	v_mfma_f32_16x16x32_fp8_fp8 v[104:107], a[108:109], v[100:101], v[104:107]// 000000003018: D3F30068 0DA2C96C
	v_mfma_f32_16x16x32_fp8_fp8 v[104:107], a[110:111], v[102:103], v[104:107]// 000000003020: D3F30068 0DA2CD6E
	v_mfma_f32_16x16x32_fp8_fp8 v[108:111], a[112:113], v[88:89], 0// 000000003028: D3F3006C 0A02B170
	v_mfma_f32_16x16x32_fp8_fp8 v[108:111], a[114:115], v[90:91], v[108:111]// 000000003030: D3F3006C 0DB2B572
	buffer_load_dwordx4 a[88:91], v32, s[20:23], 0 offen offset:1024// 000000003038: E05C1400 80855820
	v_mfma_f32_16x16x32_fp8_fp8 v[108:111], a[116:117], v[92:93], v[108:111]// 000000003040: D3F3006C 0DB2B974
	v_mfma_f32_16x16x32_fp8_fp8 v[108:111], a[118:119], v[94:95], v[108:111]// 000000003048: D3F3006C 0DB2BD76
	v_mfma_f32_16x16x32_fp8_fp8 v[108:111], a[120:121], v[96:97], v[108:111]// 000000003050: D3F3006C 0DB2C178
	v_mfma_f32_16x16x32_fp8_fp8 v[108:111], a[122:123], v[98:99], v[108:111]// 000000003058: D3F3006C 0DB2C57A
	buffer_load_dwordx4 a[92:95], v33, s[20:23], 0 offen offset:1024// 000000003060: E05C1400 80855C21
	v_mfma_f32_16x16x32_fp8_fp8 v[108:111], a[124:125], v[100:101], v[108:111]// 000000003068: D3F3006C 0DB2C97C
	s_lshr_b32 s57, s70, 4                                     // 000000003070: 8F398446
	s_add_u32 s57, 48, s57                                     // 000000003074: 803939B0
	v_mfma_f32_16x16x32_fp8_fp8 v[108:111], a[126:127], v[102:103], v[108:111]// 000000003078: D3F3006C 0DB2CD7E
	s_cmp_ge_u32 s57, s73                                      // 000000003080: BF094939
	s_cselect_b32 s56, 0, s56                                  // 000000003084: 85383880
	v_add_u32_e32 v1, s56, v1                                  // 000000003088: 68020238
	s_addk_i32 s70, 0x100                                      // 00000000308C: B7460100
	s_cmp_lt_i32 s70, s71                                      // 000000003090: BF044746
	s_cbranch_scc0 label_05A9                                  // 000000003094: BF840001
	s_branch label_01F4                                        // 000000003098: BF82FC4B

000000000000309c <label_05A9>:
	s_nop 0                                                    // 00000000309C: BF800000
	s_nop 0                                                    // 0000000030A0: BF800000
	s_branch label_0961                                        // 0000000030A4: BF8203B5

00000000000030a8 <label_05AC>:
	s_waitcnt vmcnt(8) lgkmcnt(0)                              // 0000000030A8: BF8C0078
	v_mul_u32_u24_dpp v38, v17, v51 row_newbcast:0 row_mask:0xf bank_mask:0xf// 0000000030AC: 104C66FA FF015011
	v_mul_u32_u24_dpp v39, v17, v51 row_newbcast:4 row_mask:0xf bank_mask:0xf// 0000000030B4: 104E66FA FF015411
	v_mul_u32_u24_dpp v40, v17, v51 row_newbcast:8 row_mask:0xf bank_mask:0xf// 0000000030BC: 105066FA FF015811
	v_mul_u32_u24_dpp v41, v17, v51 row_newbcast:12 row_mask:0xf bank_mask:0xf// 0000000030C4: 105266FA FF015C11
	v_add_u32_e32 v26, v38, v6                                 // 0000000030CC: 68340D26
	v_add_u32_e32 v27, v39, v6                                 // 0000000030D0: 68360D27
	v_add_u32_e32 v28, v40, v6                                 // 0000000030D4: 68380D28
	v_add_u32_e32 v29, v41, v6                                 // 0000000030D8: 683A0D29
	v_mul_u32_u24_dpp v38, v17, v61 quad_perm:[0,0,0,0] row_mask:0xf bank_mask:0xf// 0000000030DC: 104C7AFA FF000011
	v_add_u32_e32 v3, v38, v57                                 // 0000000030E4: 68067326
	v_mul_u32_u24_dpp v38, v17, v61 quad_perm:[0,0,0,0] row_mask:0xf bank_mask:0xf// 0000000030E8: 104C7AFA FF000011
	v_add_u32_e32 v54, v38, v58                                // 0000000030F0: 686C7526
	v_mfma_f32_16x16x32_fp8_fp8 v[88:91], a[0:1], v[80:81], 0  // 0000000030F4: D3F30058 0A02A100
	buffer_load_dwordx4 a[32:35], v26, s[16:19], 0 offen       // 0000000030FC: E05C1000 8084201A
	v_mfma_f32_16x16x32_fp8_fp8 v[88:91], a[2:3], v[82:83], v[88:91]// 000000003104: D3F30058 0D62A502
	v_mfma_f32_16x16x32_fp8_fp8 v[88:91], a[4:5], v[84:85], v[88:91]// 00000000310C: D3F30058 0D62A904
	buffer_load_dword v16, v1, s[24:27], 0 offen               // 000000003114: E0501000 80061001
	v_mfma_f32_16x16x32_fp8_fp8 v[88:91], a[6:7], v[86:87], v[88:91]// 00000000311C: D3F30058 0D62AD06
	v_mfma_f32_16x16x32_fp8_fp8 v[92:95], a[8:9], v[80:81], 0  // 000000003124: D3F3005C 0A02A108
	buffer_load_dwordx4 a[36:39], v26, s[16:19], 0 offen offset:1024// 00000000312C: E05C1400 8084241A
	v_mfma_f32_16x16x32_fp8_fp8 v[92:95], a[10:11], v[82:83], v[92:95]// 000000003134: D3F3005C 0D72A50A
	v_mfma_f32_16x16x32_fp8_fp8 v[92:95], a[12:13], v[84:85], v[92:95]// 00000000313C: D3F3005C 0D72A90C
	v_mfma_f32_16x16x32_fp8_fp8 v[92:95], a[14:15], v[86:87], v[92:95]// 000000003144: D3F3005C 0D72AD0E
	v_mfma_f32_16x16x32_fp8_fp8 v[96:99], a[16:17], v[80:81], 0// 00000000314C: D3F30060 0A02A110
	buffer_load_dwordx4 a[40:43], v27, s[16:19], 0 offen       // 000000003154: E05C1000 8084281B
	v_mfma_f32_16x16x32_fp8_fp8 v[96:99], a[18:19], v[82:83], v[96:99]// 00000000315C: D3F30060 0D82A512
	v_mfma_f32_16x16x32_fp8_fp8 v[96:99], a[20:21], v[84:85], v[96:99]// 000000003164: D3F30060 0D82A914
	v_mfma_f32_16x16x32_fp8_fp8 v[96:99], a[22:23], v[86:87], v[96:99]// 00000000316C: D3F30060 0D82AD16
	v_mfma_f32_16x16x32_fp8_fp8 v[100:103], a[24:25], v[80:81], 0// 000000003174: D3F30064 0A02A118
	buffer_load_dwordx4 a[44:47], v27, s[16:19], 0 offen offset:1024// 00000000317C: E05C1400 80842C1B
	v_mfma_f32_16x16x32_fp8_fp8 v[100:103], a[26:27], v[82:83], v[100:103]// 000000003184: D3F30064 0D92A51A
	v_mfma_f32_16x16x32_fp8_fp8 v[100:103], a[28:29], v[84:85], v[100:103]// 00000000318C: D3F30064 0D92A91C
	v_mfma_f32_16x16x32_fp8_fp8 v[100:103], a[30:31], v[86:87], v[100:103]// 000000003194: D3F30064 0D92AD1E
	buffer_load_dword v45, v3, s[32:35], 0 offen               // 00000000319C: E0501000 80082D03
	v_mov_b32_dpp v38, v44 row_shr:4 row_mask:0xf bank_mask:0xf// 0000000031A4: 7E4C02FA FF01142C
	v_mov_b32_dpp v39, v44 row_shl:4 row_mask:0xf bank_mask:0xf// 0000000031AC: 7E4E02FA FF01042C
	v_cndmask_b32_e64 v18, v44, v38, s[44:45]                  // 0000000031B4: D1000012 00B24D2C
	v_cndmask_b32_e64 v19, v39, v44, s[44:45]                  // 0000000031BC: D1000013 00B25927
	v_mov_b32_dpp v38, v55 row_shr:4 row_mask:0xf bank_mask:0xf// 0000000031C4: 7E4C02FA FF011437
	v_mov_b32_dpp v39, v55 row_shl:4 row_mask:0xf bank_mask:0xf// 0000000031CC: 7E4E02FA FF010437
	v_cndmask_b32_e64 v20, v55, v38, s[44:45]                  // 0000000031D4: D1000014 00B24D37
	v_cndmask_b32_e64 v21, v39, v55, s[44:45]                  // 0000000031DC: D1000015 00B26F27
	v_or_b32_dpp v88, v96, v88 row_shr:8 row_mask:0xf bank_mask:0xf bound_ctrl:1// 0000000031E4: 28B0B0FA FF091860
	v_or_b32_dpp v89, v97, v89 row_shr:8 row_mask:0xf bank_mask:0xf bound_ctrl:1// 0000000031EC: 28B2B2FA FF091861
	v_or_b32_dpp v90, v98, v90 row_shr:8 row_mask:0xf bank_mask:0xf bound_ctrl:1// 0000000031F4: 28B4B4FA FF091862
	v_or_b32_dpp v91, v99, v91 row_shr:8 row_mask:0xf bank_mask:0xf bound_ctrl:1// 0000000031FC: 28B6B6FA FF091863
	v_or_b32_dpp v92, v100, v92 row_shr:8 row_mask:0xf bank_mask:0xf bound_ctrl:1// 000000003204: 28B8B8FA FF091864
	v_or_b32_dpp v93, v101, v93 row_shr:8 row_mask:0xf bank_mask:0xf bound_ctrl:1// 00000000320C: 28BABAFA FF091865
	v_or_b32_dpp v94, v102, v94 row_shr:8 row_mask:0xf bank_mask:0xf bound_ctrl:1// 000000003214: 28BCBCFA FF091866
	v_or_b32_dpp v95, v103, v95 row_shr:8 row_mask:0xf bank_mask:0xf bound_ctrl:1// 00000000321C: 28BEBEFA FF091867
	buffer_load_dword v56, v54, s[36:39], 0 offen              // 000000003224: E0501000 80093836
	v_mul_f32_e32 v88, v46, v88                                // 00000000322C: 0AB0B12E
	v_mul_f32_e32 v89, v46, v89                                // 000000003230: 0AB2B32E
	v_mul_f32_e32 v90, v46, v90                                // 000000003234: 0AB4B52E
	v_mul_f32_e32 v91, v46, v91                                // 000000003238: 0AB6B72E
	v_mul_f32_e32 v92, v46, v92                                // 00000000323C: 0AB8B92E
	v_mul_f32_e32 v93, v46, v93                                // 000000003240: 0ABABB2E
	v_mul_f32_e32 v94, v46, v94                                // 000000003244: 0ABCBD2E
	v_mul_f32_e32 v95, v46, v95                                // 000000003248: 0ABEBF2E
	buffer_load_dwordx4 a[48:51], v28, s[16:19], 0 offen       // 00000000324C: E05C1000 8084301C
	v_mul_f32_dpp v88, v18, v88 quad_perm:[0,0,0,0] row_mask:0xf bank_mask:0xf// 000000003254: 0AB0B0FA FF000012
	v_mul_f32_dpp v89, v18, v89 quad_perm:[1,1,1,1] row_mask:0xf bank_mask:0xf// 00000000325C: 0AB2B2FA FF005512
	v_mul_f32_dpp v90, v18, v90 quad_perm:[2,2,2,2] row_mask:0xf bank_mask:0xf// 000000003264: 0AB4B4FA FF00AA12
	v_mul_f32_dpp v91, v18, v91 quad_perm:[3,3,3,3] row_mask:0xf bank_mask:0xf// 00000000326C: 0AB6B6FA FF00FF12
	v_mul_f32_dpp v92, v19, v92 quad_perm:[0,0,0,0] row_mask:0xf bank_mask:0xf// 000000003274: 0AB8B8FA FF000013
	v_mul_f32_dpp v93, v19, v93 quad_perm:[1,1,1,1] row_mask:0xf bank_mask:0xf// 00000000327C: 0ABABAFA FF005513
	v_mul_f32_dpp v94, v19, v94 quad_perm:[2,2,2,2] row_mask:0xf bank_mask:0xf// 000000003284: 0ABCBCFA FF00AA13
	v_mul_f32_dpp v95, v19, v95 quad_perm:[3,3,3,3] row_mask:0xf bank_mask:0xf// 00000000328C: 0ABEBEFA FF00FF13
	buffer_load_dwordx4 a[52:55], v28, s[16:19], 0 offen offset:1024// 000000003294: E05C1400 8084341C
	v_mov_b32_e32 v48, v88                                     // 00000000329C: 7E600358
	v_max3_f32 v48, v88, v89, v48                              // 0000000032A0: D1D30030 04C2B358
	v_max3_f32 v48, v90, v91, v48                              // 0000000032A8: D1D30030 04C2B75A
	v_max3_f32 v48, v92, v93, v48                              // 0000000032B0: D1D30030 04C2BB5C
	v_max3_f32 v48, v94, v95, v48                              // 0000000032B8: D1D30030 04C2BF5E
	ds_write_b32 v11, v48 offset:4224                          // 0000000032C0: D81A1080 0000300B
	buffer_load_dwordx4 a[56:59], v29, s[16:19], 0 offen       // 0000000032C8: E05C1000 8084381D
	v_mul_u32_u24_dpp v38, v17, v51 row_newbcast:1 row_mask:0xf bank_mask:0xf// 0000000032D0: 104C66FA FF015111
	v_mul_u32_u24_dpp v39, v17, v51 row_newbcast:5 row_mask:0xf bank_mask:0xf// 0000000032D8: 104E66FA FF015511
	v_mul_u32_u24_dpp v40, v17, v51 row_newbcast:9 row_mask:0xf bank_mask:0xf// 0000000032E0: 105066FA FF015911
	v_mul_u32_u24_dpp v41, v17, v51 row_newbcast:13 row_mask:0xf bank_mask:0xf// 0000000032E8: 105266FA FF015D11
	v_add_u32_e32 v34, v38, v7                                 // 0000000032F0: 68440F26
	v_add_u32_e32 v35, v39, v7                                 // 0000000032F4: 68460F27
	v_add_u32_e32 v36, v40, v7                                 // 0000000032F8: 68480F28
	v_add_u32_e32 v37, v41, v7                                 // 0000000032FC: 684A0F29
	s_waitcnt lgkmcnt(0)                                       // 000000003300: BF8CC07F
	s_barrier                                                  // 000000003304: BF8A0000
	ds_read_b32 v64, v10 offset:4224                           // 000000003308: D86C1080 4000000A
	ds_read_b32 v65, v10 offset:4288                           // 000000003310: D86C10C0 4100000A
	ds_read_b32 v66, v10 offset:4352                           // 000000003318: D86C1100 4200000A
	ds_read_b32 v67, v10 offset:4416                           // 000000003320: D86C1140 4300000A
	ds_read_b32 v68, v10 offset:4480                           // 000000003328: D86C1180 4400000A
	ds_read_b32 v69, v10 offset:4544                           // 000000003330: D86C11C0 4500000A
	ds_read_b32 v70, v10 offset:4608                           // 000000003338: D86C1200 4600000A
	ds_read_b32 v71, v10 offset:4672                           // 000000003340: D86C1240 4700000A
	ds_read_b32 v72, v10 offset:4736                           // 000000003348: D86C1280 4800000A
	ds_read_b32 v73, v10 offset:4800                           // 000000003350: D86C12C0 4900000A
	ds_read_b32 v74, v10 offset:4864                           // 000000003358: D86C1300 4A00000A
	ds_read_b32 v75, v10 offset:4928                           // 000000003360: D86C1340 4B00000A
	ds_read_b32 v76, v10 offset:4992                           // 000000003368: D86C1380 4C00000A
	ds_read_b32 v77, v10 offset:5056                           // 000000003370: D86C13C0 4D00000A
	ds_read_b32 v78, v10 offset:5120                           // 000000003378: D86C1400 4E00000A
	ds_read_b32 v79, v10 offset:5184                           // 000000003380: D86C1440 4F00000A
	buffer_load_dwordx4 a[60:63], v29, s[16:19], 0 offen offset:1024// 000000003388: E05C1400 80843C1D
	v_mul_f32_e32 v112, v49, v112                              // 000000003390: 0AE0E131
	v_mul_f32_e32 v113, v49, v113                              // 000000003394: 0AE2E331
	v_mul_f32_e32 v114, v49, v114                              // 000000003398: 0AE4E531
	v_mul_f32_e32 v115, v49, v115                              // 00000000339C: 0AE6E731
	v_or_b32_dpp v104, v108, v104 row_shr:8 row_mask:0xf bank_mask:0xf bound_ctrl:1// 0000000033A0: 28D0D0FA FF09186C
	v_or_b32_dpp v105, v109, v105 row_shr:8 row_mask:0xf bank_mask:0xf bound_ctrl:1// 0000000033A8: 28D2D2FA FF09186D
	v_or_b32_dpp v106, v110, v106 row_shr:8 row_mask:0xf bank_mask:0xf bound_ctrl:1// 0000000033B0: 28D4D4FA FF09186E
	v_or_b32_dpp v107, v111, v107 row_shr:8 row_mask:0xf bank_mask:0xf bound_ctrl:1// 0000000033B8: 28D6D6FA FF09186F
	s_waitcnt lgkmcnt(0)                                       // 0000000033C0: BF8CC07F
	v_max3_f32 v48, v64, v65, v48                              // 0000000033C4: D1D30030 04C28340
	v_max3_f32 v48, v66, v67, v48                              // 0000000033CC: D1D30030 04C28742
	v_max3_f32 v48, v68, v69, v48                              // 0000000033D4: D1D30030 04C28B44
	v_max3_f32 v48, v70, v71, v48                              // 0000000033DC: D1D30030 04C28F46
	v_max3_f32 v48, v72, v73, v48                              // 0000000033E4: D1D30030 04C29348
	v_max3_f32 v48, v74, v75, v48                              // 0000000033EC: D1D30030 04C2974A
	v_max3_f32 v48, v76, v77, v48                              // 0000000033F4: D1D30030 04C29B4C
	v_max3_f32 v48, v78, v79, v48                              // 0000000033FC: D1D30030 04C29F4E
	buffer_load_dwordx4 a[96:99], v34, s[20:23], 0 offen       // 000000003404: E05C1000 80856022
	v_cmp_eq_u32_e64 s[40:41], v52, v14                        // 00000000340C: D0CA0028 00021D34
	s_nop 1                                                    // 000000003414: BF800001
	v_mov_b32_dpp v38, v48 row_ror:8 row_mask:0xf bank_mask:0xf// 000000003418: 7E4C02FA FF012830
	v_max_f32_e32 v48, v48, v38                                // 000000003420: 16604D30
	v_max_f32_e32 v15, v48, v14                                // 000000003424: 161E1D30
	v_mul_f32_e32 v50, s64, v15                                // 000000003428: 0A641E40
	v_fma_f32 v88, v88, s64, -v50                              // 00000000342C: D1CB0058 84C88158
	v_fma_f32 v89, v89, s64, -v50                              // 000000003434: D1CB0059 84C88159
	v_fma_f32 v90, v90, s64, -v50                              // 00000000343C: D1CB005A 84C8815A
	v_fma_f32 v91, v91, s64, -v50                              // 000000003444: D1CB005B 84C8815B
	v_fma_f32 v92, v92, s64, -v50                              // 00000000344C: D1CB005C 84C8815C
	v_fma_f32 v93, v93, s64, -v50                              // 000000003454: D1CB005D 84C8815D
	v_fma_f32 v94, v94, s64, -v50                              // 00000000345C: D1CB005E 84C8815E
	v_fma_f32 v95, v95, s64, -v50                              // 000000003464: D1CB005F 84C8815F
	buffer_load_dwordx4 a[100:103], v35, s[20:23], 0 offen     // 00000000346C: E05C1000 80856423
	v_exp_f32_e32 v88, v88                                     // 000000003474: 7EB04158
	v_exp_f32_e32 v89, v89                                     // 000000003478: 7EB24159
	v_exp_f32_e32 v90, v90                                     // 00000000347C: 7EB4415A
	v_exp_f32_e32 v91, v91                                     // 000000003480: 7EB6415B
	v_exp_f32_e32 v92, v92                                     // 000000003484: 7EB8415C
	v_exp_f32_e32 v93, v93                                     // 000000003488: 7EBA415D
	v_exp_f32_e32 v94, v94                                     // 00000000348C: 7EBC415E
	v_exp_f32_e32 v95, v95                                     // 000000003490: 7EBE415F
	buffer_load_dwordx4 a[104:107], v36, s[20:23], 0 offen     // 000000003494: E05C1000 80856824
	v_mul_f32_dpp v116, v20, v88 quad_perm:[0,0,0,0] row_mask:0xf bank_mask:0xf// 00000000349C: 0AE8B0FA FF000014
	v_mul_f32_dpp v117, v20, v89 quad_perm:[1,1,1,1] row_mask:0xf bank_mask:0xf// 0000000034A4: 0AEAB2FA FF005514
	v_mul_f32_dpp v118, v20, v90 quad_perm:[2,2,2,2] row_mask:0xf bank_mask:0xf// 0000000034AC: 0AECB4FA FF00AA14
	v_mul_f32_dpp v119, v20, v91 quad_perm:[3,3,3,3] row_mask:0xf bank_mask:0xf// 0000000034B4: 0AEEB6FA FF00FF14
	v_mul_f32_dpp v120, v21, v92 quad_perm:[0,0,0,0] row_mask:0xf bank_mask:0xf// 0000000034BC: 0AF0B8FA FF000015
	v_mul_f32_dpp v121, v21, v93 quad_perm:[1,1,1,1] row_mask:0xf bank_mask:0xf// 0000000034C4: 0AF2BAFA FF005515
	v_mul_f32_dpp v122, v21, v94 quad_perm:[2,2,2,2] row_mask:0xf bank_mask:0xf// 0000000034CC: 0AF4BCFA FF00AA15
	v_mul_f32_dpp v123, v21, v95 quad_perm:[3,3,3,3] row_mask:0xf bank_mask:0xf// 0000000034D4: 0AF6BEFA FF00FF15
	v_mov_b32_e32 v48, 0x358637bd                              // 0000000034DC: 7E6002FF 358637BD
	v_max3_f32 v48, |v116|, |v117|, v48                        // 0000000034E4: D1D30330 04C2EB74
	v_max3_f32 v48, |v118|, |v119|, v48                        // 0000000034EC: D1D30330 04C2EF76
	v_max3_f32 v48, |v120|, |v121|, v48                        // 0000000034F4: D1D30330 04C2F378
	v_max3_f32 v48, |v122|, |v123|, v48                        // 0000000034FC: D1D30330 04C2F77A
	buffer_load_dwordx4 a[108:111], v37, s[20:23], 0 offen     // 000000003504: E05C1000 80856C25
	ds_write_b32 v11, v48 offset:5248                          // 00000000350C: D81A1480 0000300B
	v_sub_f32_e32 v49, v14, v15                                // 000000003514: 04621F0E
	v_cndmask_b32_e64 v49, v49, 0, s[40:41]                    // 000000003518: D1000031 00A10131
	v_mov_b32_e32 v14, v15                                     // 000000003520: 7E1C030F
	v_mul_f32_e32 v49, s64, v49                                // 000000003524: 0A626240
	v_exp_f32_e32 v49, v49                                     // 000000003528: 7E624131
	s_waitcnt lgkmcnt(0)                                       // 00000000352C: BF8CC07F
	s_barrier                                                  // 000000003530: BF8A0000
	ds_read_b32 v64, v10 offset:5248                           // 000000003534: D86C1480 4000000A
	ds_read_b32 v65, v10 offset:5312                           // 00000000353C: D86C14C0 4100000A
	ds_read_b32 v66, v10 offset:5376                           // 000000003544: D86C1500 4200000A
	ds_read_b32 v67, v10 offset:5440                           // 00000000354C: D86C1540 4300000A
	ds_read_b32 v68, v10 offset:5504                           // 000000003554: D86C1580 4400000A
	ds_read_b32 v69, v10 offset:5568                           // 00000000355C: D86C15C0 4500000A
	ds_read_b32 v70, v10 offset:5632                           // 000000003564: D86C1600 4600000A
	ds_read_b32 v71, v10 offset:5696                           // 00000000356C: D86C1640 4700000A
	ds_read_b32 v72, v10 offset:5760                           // 000000003574: D86C1680 4800000A
	ds_read_b32 v73, v10 offset:5824                           // 00000000357C: D86C16C0 4900000A
	ds_read_b32 v74, v10 offset:5888                           // 000000003584: D86C1700 4A00000A
	ds_read_b32 v75, v10 offset:5952                           // 00000000358C: D86C1740 4B00000A
	ds_read_b32 v76, v10 offset:6016                           // 000000003594: D86C1780 4C00000A
	ds_read_b32 v77, v10 offset:6080                           // 00000000359C: D86C17C0 4D00000A
	ds_read_b32 v78, v10 offset:6144                           // 0000000035A4: D86C1800 4E00000A
	ds_read_b32 v79, v10 offset:6208                           // 0000000035AC: D86C1840 4F00000A
	v_mul_f32_e32 v42, v49, v42                                // 0000000035B4: 0A545531
	v_mov_b32_e32 v43, v88                                     // 0000000035B8: 7E560358
	v_add_f32_e32 v43, v89, v43                                // 0000000035BC: 02565759
	v_add_f32_e32 v43, v90, v43                                // 0000000035C0: 0256575A
	v_add_f32_e32 v43, v91, v43                                // 0000000035C4: 0256575B
	v_add_f32_e32 v43, v92, v43                                // 0000000035C8: 0256575C
	v_add_f32_e32 v43, v93, v43                                // 0000000035CC: 0256575D
	v_add_f32_e32 v43, v94, v43                                // 0000000035D0: 0256575E
	v_add_f32_e32 v43, v95, v43                                // 0000000035D4: 0256575F
	v_add_f32_e32 v42, v43, v42                                // 0000000035D8: 0254552B
	s_waitcnt lgkmcnt(0)                                       // 0000000035DC: BF8CC07F
	v_max3_f32 v48, |v64|, |v65|, v48                          // 0000000035E0: D1D30330 04C28340
	v_max3_f32 v48, |v66|, |v67|, v48                          // 0000000035E8: D1D30330 04C28742
	v_max3_f32 v48, |v68|, |v69|, v48                          // 0000000035F0: D1D30330 04C28B44
	v_max3_f32 v48, |v70|, |v71|, v48                          // 0000000035F8: D1D30330 04C28F46
	v_max3_f32 v48, |v72|, |v73|, v48                          // 000000003600: D1D30330 04C29348
	v_max3_f32 v48, |v74|, |v75|, v48                          // 000000003608: D1D30330 04C2974A
	v_max3_f32 v48, |v76|, |v77|, v48                          // 000000003610: D1D30330 04C29B4C
	v_max3_f32 v48, |v78|, |v79|, v48                          // 000000003618: D1D30330 04C29F4E
	s_nop 2                                                    // 000000003620: BF800002
	v_mov_b32_dpp v38, v48 row_ror:8 row_mask:0xf bank_mask:0xf// 000000003624: 7E4C02FA FF012830
	v_max_f32_e32 v48, v48, v38                                // 00000000362C: 16604D30
	v_rcp_f32_e32 v48, v48                                     // 000000003630: 7E604530
	s_nop 1                                                    // 000000003634: BF800001
	v_mul_f32_e32 v48, 0x43700000, v48                         // 000000003638: 0A6060FF 43700000
	v_mul_f32_e32 v88, v48, v116                               // 000000003640: 0AB0E930
	v_mul_f32_e32 v89, v48, v117                               // 000000003644: 0AB2EB30
	v_mul_f32_e32 v90, v48, v118                               // 000000003648: 0AB4ED30
	v_mul_f32_e32 v91, v48, v119                               // 00000000364C: 0AB6EF30
	v_mul_f32_e32 v92, v48, v120                               // 000000003650: 0AB8F130
	v_mul_f32_e32 v93, v48, v121                               // 000000003654: 0ABAF330
	v_mul_f32_e32 v94, v48, v122                               // 000000003658: 0ABCF530
	v_mul_f32_e32 v95, v48, v123                               // 00000000365C: 0ABEF730
	v_cvt_pk_fp8_f32 v88, v88, v89                             // 000000003660: D2A20058 0002B358
	v_cvt_pk_fp8_f32 v88, v90, v91 op_sel:[0,0,1]              // 000000003668: D2A24058 0002B75A
	v_cvt_pk_fp8_f32 v89, v92, v93                             // 000000003670: D2A20059 0002BB5C
	v_cvt_pk_fp8_f32 v89, v94, v95 op_sel:[0,0,1]              // 000000003678: D2A24059 0002BF5E
	ds_write_b32 v13, v88 offset:6272                          // 000000003680: D81A1880 0000580D
	ds_write_b32 v13, v89 offset:7296                          // 000000003688: D81A1C80 0000590D
	v_mul_f32_e32 v104, v47, v104                              // 000000003690: 0AD0D12F
	v_mul_f32_e32 v105, v47, v105                              // 000000003694: 0AD2D32F
	v_mul_f32_e32 v106, v47, v106                              // 000000003698: 0AD4D52F
	v_mul_f32_e32 v107, v47, v107                              // 00000000369C: 0AD6D72F
	v_rcp_f32_e32 v47, v48                                     // 0000000036A0: 7E5E4530
	s_waitcnt lgkmcnt(0)                                       // 0000000036A4: BF8CC07F
	s_barrier                                                  // 0000000036A8: BF8A0000
	ds_read_b64 v[88:89], v12 offset:6272                      // 0000000036AC: D8EC1880 5800000C
	ds_read_b64 v[90:91], v12 offset:6400                      // 0000000036B4: D8EC1900 5A00000C
	ds_read_b64 v[92:93], v12 offset:7296                      // 0000000036BC: D8EC1C80 5C00000C
	ds_read_b64 v[94:95], v12 offset:7424                      // 0000000036C4: D8EC1D00 5E00000C
	v_add_f32_e32 v112, v112, v104                             // 0000000036CC: 02E0D170
	v_add_f32_e32 v113, v113, v105                             // 0000000036D0: 02E2D371
	v_add_f32_e32 v114, v114, v106                             // 0000000036D4: 02E4D572
	v_add_f32_e32 v115, v115, v107                             // 0000000036D8: 02E6D773
	s_waitcnt lgkmcnt(3)                                       // 0000000036DC: BF8CC37F
	v_mov_b32_dpp v96, v88 row_shl:8 row_mask:0xf bank_mask:0xf bound_ctrl:1// 0000000036E0: 7EC002FA FF090858
	v_and_b32_e32 v88, v88, v9                                 // 0000000036E8: 26B01358
	v_mov_b32_dpp v97, v89 row_shl:8 row_mask:0xf bank_mask:0xf bound_ctrl:1// 0000000036EC: 7EC202FA FF090859
	v_and_b32_e32 v89, v89, v9                                 // 0000000036F4: 26B21359
	s_waitcnt lgkmcnt(2)                                       // 0000000036F8: BF8CC27F
	v_mov_b32_dpp v98, v90 row_shl:8 row_mask:0xf bank_mask:0xf bound_ctrl:1// 0000000036FC: 7EC402FA FF09085A
	v_and_b32_e32 v90, v90, v9                                 // 000000003704: 26B4135A
	v_mov_b32_dpp v99, v91 row_shl:8 row_mask:0xf bank_mask:0xf bound_ctrl:1// 000000003708: 7EC602FA FF09085B
	v_and_b32_e32 v91, v91, v9                                 // 000000003710: 26B6135B
	s_waitcnt lgkmcnt(1)                                       // 000000003714: BF8CC17F
	v_mov_b32_dpp v100, v92 row_shl:8 row_mask:0xf bank_mask:0xf bound_ctrl:1// 000000003718: 7EC802FA FF09085C
	v_and_b32_e32 v92, v92, v9                                 // 000000003720: 26B8135C
	v_mov_b32_dpp v101, v93 row_shl:8 row_mask:0xf bank_mask:0xf bound_ctrl:1// 000000003724: 7ECA02FA FF09085D
	v_and_b32_e32 v93, v93, v9                                 // 00000000372C: 26BA135D
	s_waitcnt lgkmcnt(0)                                       // 000000003730: BF8CC07F
	v_mov_b32_dpp v102, v94 row_shl:8 row_mask:0xf bank_mask:0xf bound_ctrl:1// 000000003734: 7ECC02FA FF09085E
	v_and_b32_e32 v94, v94, v9                                 // 00000000373C: 26BC135E
	v_mov_b32_dpp v103, v95 row_shl:8 row_mask:0xf bank_mask:0xf bound_ctrl:1// 000000003740: 7ECE02FA FF09085F
	v_and_b32_e32 v95, v95, v9                                 // 000000003748: 26BE135F
	s_waitcnt vmcnt(15)                                        // 00000000374C: BF8C0F7F
	v_mfma_f32_16x16x32_fp8_fp8 v[104:107], a[64:65], v[88:89], 0// 000000003750: D3F30068 0A02B140
	buffer_load_dwordx4 a[112:115], v34, s[20:23], 0 offen offset:1024// 000000003758: E05C1400 80857022
	v_mfma_f32_16x16x32_fp8_fp8 v[104:107], a[66:67], v[90:91], v[104:107]// 000000003760: D3F30068 0DA2B542
	v_mfma_f32_16x16x32_fp8_fp8 v[104:107], a[68:69], v[92:93], v[104:107]// 000000003768: D3F30068 0DA2B944
	v_mfma_f32_16x16x32_fp8_fp8 v[104:107], a[70:71], v[94:95], v[104:107]// 000000003770: D3F30068 0DA2BD46
	v_mfma_f32_16x16x32_fp8_fp8 v[104:107], a[72:73], v[96:97], v[104:107]// 000000003778: D3F30068 0DA2C148
	buffer_load_dwordx4 a[116:119], v35, s[20:23], 0 offen offset:1024// 000000003780: E05C1400 80857423
	v_mfma_f32_16x16x32_fp8_fp8 v[104:107], a[74:75], v[98:99], v[104:107]// 000000003788: D3F30068 0DA2C54A
	v_mfma_f32_16x16x32_fp8_fp8 v[104:107], a[76:77], v[100:101], v[104:107]// 000000003790: D3F30068 0DA2C94C
	v_mfma_f32_16x16x32_fp8_fp8 v[104:107], a[78:79], v[102:103], v[104:107]// 000000003798: D3F30068 0DA2CD4E
	v_mfma_f32_16x16x32_fp8_fp8 v[108:111], a[80:81], v[88:89], 0// 0000000037A0: D3F3006C 0A02B150
	buffer_load_dwordx4 a[120:123], v36, s[20:23], 0 offen offset:1024// 0000000037A8: E05C1400 80857824
	v_mfma_f32_16x16x32_fp8_fp8 v[108:111], a[82:83], v[90:91], v[108:111]// 0000000037B0: D3F3006C 0DB2B552
	v_mfma_f32_16x16x32_fp8_fp8 v[108:111], a[84:85], v[92:93], v[108:111]// 0000000037B8: D3F3006C 0DB2B954
	v_mfma_f32_16x16x32_fp8_fp8 v[108:111], a[86:87], v[94:95], v[108:111]// 0000000037C0: D3F3006C 0DB2BD56
	v_mfma_f32_16x16x32_fp8_fp8 v[108:111], a[88:89], v[96:97], v[108:111]// 0000000037C8: D3F3006C 0DB2C158
	buffer_load_dwordx4 a[124:127], v37, s[20:23], 0 offen offset:1024// 0000000037D0: E05C1400 80857C25
	v_mfma_f32_16x16x32_fp8_fp8 v[108:111], a[90:91], v[98:99], v[108:111]// 0000000037D8: D3F3006C 0DB2C55A
	v_mfma_f32_16x16x32_fp8_fp8 v[108:111], a[92:93], v[100:101], v[108:111]// 0000000037E0: D3F3006C 0DB2C95C
	s_lshr_b32 s57, s70, 4                                     // 0000000037E8: 8F398446
	s_add_u32 s57, 48, s57                                     // 0000000037EC: 803939B0
	v_mfma_f32_16x16x32_fp8_fp8 v[108:111], a[94:95], v[102:103], v[108:111]// 0000000037F0: D3F3006C 0DB2CD5E
	s_cmp_ge_u32 s57, s73                                      // 0000000037F8: BF094939
	s_cselect_b32 s56, 0, s56                                  // 0000000037FC: 85383880
	v_add_u32_e32 v1, s56, v1                                  // 000000003800: 68020238
	s_addk_i32 s70, 0x100                                      // 000000003804: B7460100
	s_cmp_lt_i32 s70, s71                                      // 000000003808: BF044746
	s_cbranch_scc0 label_05A9                                  // 00000000380C: BF84FE23
	s_waitcnt vmcnt(8) lgkmcnt(0)                              // 000000003810: BF8C0078
	v_mul_u32_u24_dpp v38, v16, v51 row_newbcast:0 row_mask:0xf bank_mask:0xf// 000000003814: 104C66FA FF015010
	v_mul_u32_u24_dpp v39, v16, v51 row_newbcast:4 row_mask:0xf bank_mask:0xf// 00000000381C: 104E66FA FF015410
	v_mul_u32_u24_dpp v40, v16, v51 row_newbcast:8 row_mask:0xf bank_mask:0xf// 000000003824: 105066FA FF015810
	v_mul_u32_u24_dpp v41, v16, v51 row_newbcast:12 row_mask:0xf bank_mask:0xf// 00000000382C: 105266FA FF015C10
	v_add_u32_e32 v22, v38, v6                                 // 000000003834: 682C0D26
	v_add_u32_e32 v23, v39, v6                                 // 000000003838: 682E0D27
	v_add_u32_e32 v24, v40, v6                                 // 00000000383C: 68300D28
	v_add_u32_e32 v25, v41, v6                                 // 000000003840: 68320D29
	v_mul_u32_u24_dpp v38, v16, v61 quad_perm:[0,0,0,0] row_mask:0xf bank_mask:0xf// 000000003844: 104C7AFA FF000010
	v_add_u32_e32 v2, v38, v57                                 // 00000000384C: 68047326
	v_mul_u32_u24_dpp v38, v16, v61 quad_perm:[0,0,0,0] row_mask:0xf bank_mask:0xf// 000000003850: 104C7AFA FF000010
	v_add_u32_e32 v53, v38, v58                                // 000000003858: 686A7526
	v_mfma_f32_16x16x32_fp8_fp8 v[88:91], a[32:33], v[80:81], 0// 00000000385C: D3F30058 0A02A120
	buffer_load_dwordx4 a[0:3], v22, s[16:19], 0 offen         // 000000003864: E05C1000 80840016
	v_mfma_f32_16x16x32_fp8_fp8 v[88:91], a[34:35], v[82:83], v[88:91]// 00000000386C: D3F30058 0D62A522
	v_mfma_f32_16x16x32_fp8_fp8 v[88:91], a[36:37], v[84:85], v[88:91]// 000000003874: D3F30058 0D62A924
	buffer_load_dword v17, v1, s[24:27], 0 offen               // 00000000387C: E0501000 80061101
	v_mfma_f32_16x16x32_fp8_fp8 v[88:91], a[38:39], v[86:87], v[88:91]// 000000003884: D3F30058 0D62AD26
	v_mfma_f32_16x16x32_fp8_fp8 v[92:95], a[40:41], v[80:81], 0// 00000000388C: D3F3005C 0A02A128
	buffer_load_dwordx4 a[4:7], v22, s[16:19], 0 offen offset:1024// 000000003894: E05C1400 80840416
	v_mfma_f32_16x16x32_fp8_fp8 v[92:95], a[42:43], v[82:83], v[92:95]// 00000000389C: D3F3005C 0D72A52A
	v_mfma_f32_16x16x32_fp8_fp8 v[92:95], a[44:45], v[84:85], v[92:95]// 0000000038A4: D3F3005C 0D72A92C
	v_mfma_f32_16x16x32_fp8_fp8 v[92:95], a[46:47], v[86:87], v[92:95]// 0000000038AC: D3F3005C 0D72AD2E
	v_mfma_f32_16x16x32_fp8_fp8 v[96:99], a[48:49], v[80:81], 0// 0000000038B4: D3F30060 0A02A130
	buffer_load_dwordx4 a[8:11], v23, s[16:19], 0 offen        // 0000000038BC: E05C1000 80840817
	v_mfma_f32_16x16x32_fp8_fp8 v[96:99], a[50:51], v[82:83], v[96:99]// 0000000038C4: D3F30060 0D82A532
	v_mfma_f32_16x16x32_fp8_fp8 v[96:99], a[52:53], v[84:85], v[96:99]// 0000000038CC: D3F30060 0D82A934
	v_mfma_f32_16x16x32_fp8_fp8 v[96:99], a[54:55], v[86:87], v[96:99]// 0000000038D4: D3F30060 0D82AD36
	v_mfma_f32_16x16x32_fp8_fp8 v[100:103], a[56:57], v[80:81], 0// 0000000038DC: D3F30064 0A02A138
	buffer_load_dwordx4 a[12:15], v23, s[16:19], 0 offen offset:1024// 0000000038E4: E05C1400 80840C17
	v_mfma_f32_16x16x32_fp8_fp8 v[100:103], a[58:59], v[82:83], v[100:103]// 0000000038EC: D3F30064 0D92A53A
	v_mfma_f32_16x16x32_fp8_fp8 v[100:103], a[60:61], v[84:85], v[100:103]// 0000000038F4: D3F30064 0D92A93C
	v_mfma_f32_16x16x32_fp8_fp8 v[100:103], a[62:63], v[86:87], v[100:103]// 0000000038FC: D3F30064 0D92AD3E
	buffer_load_dword v44, v2, s[32:35], 0 offen               // 000000003904: E0501000 80082C02
	v_mov_b32_dpp v38, v45 row_shr:4 row_mask:0xf bank_mask:0xf// 00000000390C: 7E4C02FA FF01142D
	v_mov_b32_dpp v39, v45 row_shl:4 row_mask:0xf bank_mask:0xf// 000000003914: 7E4E02FA FF01042D
	v_cndmask_b32_e64 v18, v45, v38, s[44:45]                  // 00000000391C: D1000012 00B24D2D
	v_cndmask_b32_e64 v19, v39, v45, s[44:45]                  // 000000003924: D1000013 00B25B27
	v_mov_b32_dpp v38, v56 row_shr:4 row_mask:0xf bank_mask:0xf// 00000000392C: 7E4C02FA FF011438
	v_mov_b32_dpp v39, v56 row_shl:4 row_mask:0xf bank_mask:0xf// 000000003934: 7E4E02FA FF010438
	v_cndmask_b32_e64 v20, v56, v38, s[44:45]                  // 00000000393C: D1000014 00B24D38
	v_cndmask_b32_e64 v21, v39, v56, s[44:45]                  // 000000003944: D1000015 00B27127
	v_or_b32_dpp v88, v96, v88 row_shr:8 row_mask:0xf bank_mask:0xf bound_ctrl:1// 00000000394C: 28B0B0FA FF091860
	v_or_b32_dpp v89, v97, v89 row_shr:8 row_mask:0xf bank_mask:0xf bound_ctrl:1// 000000003954: 28B2B2FA FF091861
	v_or_b32_dpp v90, v98, v90 row_shr:8 row_mask:0xf bank_mask:0xf bound_ctrl:1// 00000000395C: 28B4B4FA FF091862
	v_or_b32_dpp v91, v99, v91 row_shr:8 row_mask:0xf bank_mask:0xf bound_ctrl:1// 000000003964: 28B6B6FA FF091863
	v_or_b32_dpp v92, v100, v92 row_shr:8 row_mask:0xf bank_mask:0xf bound_ctrl:1// 00000000396C: 28B8B8FA FF091864
	v_or_b32_dpp v93, v101, v93 row_shr:8 row_mask:0xf bank_mask:0xf bound_ctrl:1// 000000003974: 28BABAFA FF091865
	v_or_b32_dpp v94, v102, v94 row_shr:8 row_mask:0xf bank_mask:0xf bound_ctrl:1// 00000000397C: 28BCBCFA FF091866
	v_or_b32_dpp v95, v103, v95 row_shr:8 row_mask:0xf bank_mask:0xf bound_ctrl:1// 000000003984: 28BEBEFA FF091867
	buffer_load_dword v55, v53, s[36:39], 0 offen              // 00000000398C: E0501000 80093735
	v_mul_f32_e32 v88, v46, v88                                // 000000003994: 0AB0B12E
	v_mul_f32_e32 v89, v46, v89                                // 000000003998: 0AB2B32E
	v_mul_f32_e32 v90, v46, v90                                // 00000000399C: 0AB4B52E
	v_mul_f32_e32 v91, v46, v91                                // 0000000039A0: 0AB6B72E
	v_mul_f32_e32 v92, v46, v92                                // 0000000039A4: 0AB8B92E
	v_mul_f32_e32 v93, v46, v93                                // 0000000039A8: 0ABABB2E
	v_mul_f32_e32 v94, v46, v94                                // 0000000039AC: 0ABCBD2E
	v_mul_f32_e32 v95, v46, v95                                // 0000000039B0: 0ABEBF2E
	buffer_load_dwordx4 a[16:19], v24, s[16:19], 0 offen       // 0000000039B4: E05C1000 80841018
	v_mul_f32_dpp v88, v18, v88 quad_perm:[0,0,0,0] row_mask:0xf bank_mask:0xf// 0000000039BC: 0AB0B0FA FF000012
	v_mul_f32_dpp v89, v18, v89 quad_perm:[1,1,1,1] row_mask:0xf bank_mask:0xf// 0000000039C4: 0AB2B2FA FF005512
	v_mul_f32_dpp v90, v18, v90 quad_perm:[2,2,2,2] row_mask:0xf bank_mask:0xf// 0000000039CC: 0AB4B4FA FF00AA12
	v_mul_f32_dpp v91, v18, v91 quad_perm:[3,3,3,3] row_mask:0xf bank_mask:0xf// 0000000039D4: 0AB6B6FA FF00FF12
	v_mul_f32_dpp v92, v19, v92 quad_perm:[0,0,0,0] row_mask:0xf bank_mask:0xf// 0000000039DC: 0AB8B8FA FF000013
	v_mul_f32_dpp v93, v19, v93 quad_perm:[1,1,1,1] row_mask:0xf bank_mask:0xf// 0000000039E4: 0ABABAFA FF005513
	v_mul_f32_dpp v94, v19, v94 quad_perm:[2,2,2,2] row_mask:0xf bank_mask:0xf// 0000000039EC: 0ABCBCFA FF00AA13
	v_mul_f32_dpp v95, v19, v95 quad_perm:[3,3,3,3] row_mask:0xf bank_mask:0xf// 0000000039F4: 0ABEBEFA FF00FF13
	buffer_load_dwordx4 a[20:23], v24, s[16:19], 0 offen offset:1024// 0000000039FC: E05C1400 80841418
	v_mov_b32_e32 v48, v88                                     // 000000003A04: 7E600358
	v_max3_f32 v48, v88, v89, v48                              // 000000003A08: D1D30030 04C2B358
	v_max3_f32 v48, v90, v91, v48                              // 000000003A10: D1D30030 04C2B75A
	v_max3_f32 v48, v92, v93, v48                              // 000000003A18: D1D30030 04C2BB5C
	v_max3_f32 v48, v94, v95, v48                              // 000000003A20: D1D30030 04C2BF5E
	ds_write_b32 v11, v48 offset:4224                          // 000000003A28: D81A1080 0000300B
	buffer_load_dwordx4 a[24:27], v25, s[16:19], 0 offen       // 000000003A30: E05C1000 80841819
	v_mul_u32_u24_dpp v38, v16, v51 row_newbcast:1 row_mask:0xf bank_mask:0xf// 000000003A38: 104C66FA FF015110
	v_mul_u32_u24_dpp v39, v16, v51 row_newbcast:5 row_mask:0xf bank_mask:0xf// 000000003A40: 104E66FA FF015510
	v_mul_u32_u24_dpp v40, v16, v51 row_newbcast:9 row_mask:0xf bank_mask:0xf// 000000003A48: 105066FA FF015910
	v_mul_u32_u24_dpp v41, v16, v51 row_newbcast:13 row_mask:0xf bank_mask:0xf// 000000003A50: 105266FA FF015D10
	v_add_u32_e32 v30, v38, v7                                 // 000000003A58: 683C0F26
	v_add_u32_e32 v31, v39, v7                                 // 000000003A5C: 683E0F27
	v_add_u32_e32 v32, v40, v7                                 // 000000003A60: 68400F28
	v_add_u32_e32 v33, v41, v7                                 // 000000003A64: 68420F29
	s_waitcnt lgkmcnt(0)                                       // 000000003A68: BF8CC07F
	s_barrier                                                  // 000000003A6C: BF8A0000
	ds_read_b32 v64, v10 offset:4224                           // 000000003A70: D86C1080 4000000A
	ds_read_b32 v65, v10 offset:4288                           // 000000003A78: D86C10C0 4100000A
	ds_read_b32 v66, v10 offset:4352                           // 000000003A80: D86C1100 4200000A
	ds_read_b32 v67, v10 offset:4416                           // 000000003A88: D86C1140 4300000A
	ds_read_b32 v68, v10 offset:4480                           // 000000003A90: D86C1180 4400000A
	ds_read_b32 v69, v10 offset:4544                           // 000000003A98: D86C11C0 4500000A
	ds_read_b32 v70, v10 offset:4608                           // 000000003AA0: D86C1200 4600000A
	ds_read_b32 v71, v10 offset:4672                           // 000000003AA8: D86C1240 4700000A
	ds_read_b32 v72, v10 offset:4736                           // 000000003AB0: D86C1280 4800000A
	ds_read_b32 v73, v10 offset:4800                           // 000000003AB8: D86C12C0 4900000A
	ds_read_b32 v74, v10 offset:4864                           // 000000003AC0: D86C1300 4A00000A
	ds_read_b32 v75, v10 offset:4928                           // 000000003AC8: D86C1340 4B00000A
	ds_read_b32 v76, v10 offset:4992                           // 000000003AD0: D86C1380 4C00000A
	ds_read_b32 v77, v10 offset:5056                           // 000000003AD8: D86C13C0 4D00000A
	ds_read_b32 v78, v10 offset:5120                           // 000000003AE0: D86C1400 4E00000A
	ds_read_b32 v79, v10 offset:5184                           // 000000003AE8: D86C1440 4F00000A
	buffer_load_dwordx4 a[28:31], v25, s[16:19], 0 offen offset:1024// 000000003AF0: E05C1400 80841C19
	v_mul_f32_e32 v112, v49, v112                              // 000000003AF8: 0AE0E131
	v_mul_f32_e32 v113, v49, v113                              // 000000003AFC: 0AE2E331
	v_mul_f32_e32 v114, v49, v114                              // 000000003B00: 0AE4E531
	v_mul_f32_e32 v115, v49, v115                              // 000000003B04: 0AE6E731
	v_or_b32_dpp v104, v108, v104 row_shr:8 row_mask:0xf bank_mask:0xf bound_ctrl:1// 000000003B08: 28D0D0FA FF09186C
	v_or_b32_dpp v105, v109, v105 row_shr:8 row_mask:0xf bank_mask:0xf bound_ctrl:1// 000000003B10: 28D2D2FA FF09186D
	v_or_b32_dpp v106, v110, v106 row_shr:8 row_mask:0xf bank_mask:0xf bound_ctrl:1// 000000003B18: 28D4D4FA FF09186E
	v_or_b32_dpp v107, v111, v107 row_shr:8 row_mask:0xf bank_mask:0xf bound_ctrl:1// 000000003B20: 28D6D6FA FF09186F
	s_waitcnt lgkmcnt(0)                                       // 000000003B28: BF8CC07F
	v_max3_f32 v48, v64, v65, v48                              // 000000003B2C: D1D30030 04C28340
	v_max3_f32 v48, v66, v67, v48                              // 000000003B34: D1D30030 04C28742
	v_max3_f32 v48, v68, v69, v48                              // 000000003B3C: D1D30030 04C28B44
	v_max3_f32 v48, v70, v71, v48                              // 000000003B44: D1D30030 04C28F46
	v_max3_f32 v48, v72, v73, v48                              // 000000003B4C: D1D30030 04C29348
	v_max3_f32 v48, v74, v75, v48                              // 000000003B54: D1D30030 04C2974A
	v_max3_f32 v48, v76, v77, v48                              // 000000003B5C: D1D30030 04C29B4C
	v_max3_f32 v48, v78, v79, v48                              // 000000003B64: D1D30030 04C29F4E
	buffer_load_dwordx4 a[64:67], v30, s[20:23], 0 offen       // 000000003B6C: E05C1000 8085401E
	v_cmp_eq_u32_e64 s[40:41], v52, v14                        // 000000003B74: D0CA0028 00021D34
	s_nop 1                                                    // 000000003B7C: BF800001
	v_mov_b32_dpp v38, v48 row_ror:8 row_mask:0xf bank_mask:0xf// 000000003B80: 7E4C02FA FF012830
	v_max_f32_e32 v48, v48, v38                                // 000000003B88: 16604D30
	v_max_f32_e32 v15, v48, v14                                // 000000003B8C: 161E1D30
	v_mul_f32_e32 v50, s64, v15                                // 000000003B90: 0A641E40
	v_fma_f32 v88, v88, s64, -v50                              // 000000003B94: D1CB0058 84C88158
	v_fma_f32 v89, v89, s64, -v50                              // 000000003B9C: D1CB0059 84C88159
	v_fma_f32 v90, v90, s64, -v50                              // 000000003BA4: D1CB005A 84C8815A
	v_fma_f32 v91, v91, s64, -v50                              // 000000003BAC: D1CB005B 84C8815B
	v_fma_f32 v92, v92, s64, -v50                              // 000000003BB4: D1CB005C 84C8815C
	v_fma_f32 v93, v93, s64, -v50                              // 000000003BBC: D1CB005D 84C8815D
	v_fma_f32 v94, v94, s64, -v50                              // 000000003BC4: D1CB005E 84C8815E
	v_fma_f32 v95, v95, s64, -v50                              // 000000003BCC: D1CB005F 84C8815F
	buffer_load_dwordx4 a[68:71], v31, s[20:23], 0 offen       // 000000003BD4: E05C1000 8085441F
	v_exp_f32_e32 v88, v88                                     // 000000003BDC: 7EB04158
	v_exp_f32_e32 v89, v89                                     // 000000003BE0: 7EB24159
	v_exp_f32_e32 v90, v90                                     // 000000003BE4: 7EB4415A
	v_exp_f32_e32 v91, v91                                     // 000000003BE8: 7EB6415B
	v_exp_f32_e32 v92, v92                                     // 000000003BEC: 7EB8415C
	v_exp_f32_e32 v93, v93                                     // 000000003BF0: 7EBA415D
	v_exp_f32_e32 v94, v94                                     // 000000003BF4: 7EBC415E
	v_exp_f32_e32 v95, v95                                     // 000000003BF8: 7EBE415F
	buffer_load_dwordx4 a[72:75], v32, s[20:23], 0 offen       // 000000003BFC: E05C1000 80854820
	v_mul_f32_dpp v116, v20, v88 quad_perm:[0,0,0,0] row_mask:0xf bank_mask:0xf// 000000003C04: 0AE8B0FA FF000014
	v_mul_f32_dpp v117, v20, v89 quad_perm:[1,1,1,1] row_mask:0xf bank_mask:0xf// 000000003C0C: 0AEAB2FA FF005514
	v_mul_f32_dpp v118, v20, v90 quad_perm:[2,2,2,2] row_mask:0xf bank_mask:0xf// 000000003C14: 0AECB4FA FF00AA14
	v_mul_f32_dpp v119, v20, v91 quad_perm:[3,3,3,3] row_mask:0xf bank_mask:0xf// 000000003C1C: 0AEEB6FA FF00FF14
	v_mul_f32_dpp v120, v21, v92 quad_perm:[0,0,0,0] row_mask:0xf bank_mask:0xf// 000000003C24: 0AF0B8FA FF000015
	v_mul_f32_dpp v121, v21, v93 quad_perm:[1,1,1,1] row_mask:0xf bank_mask:0xf// 000000003C2C: 0AF2BAFA FF005515
	v_mul_f32_dpp v122, v21, v94 quad_perm:[2,2,2,2] row_mask:0xf bank_mask:0xf// 000000003C34: 0AF4BCFA FF00AA15
	v_mul_f32_dpp v123, v21, v95 quad_perm:[3,3,3,3] row_mask:0xf bank_mask:0xf// 000000003C3C: 0AF6BEFA FF00FF15
	v_mov_b32_e32 v48, 0x358637bd                              // 000000003C44: 7E6002FF 358637BD
	v_max3_f32 v48, |v116|, |v117|, v48                        // 000000003C4C: D1D30330 04C2EB74
	v_max3_f32 v48, |v118|, |v119|, v48                        // 000000003C54: D1D30330 04C2EF76
	v_max3_f32 v48, |v120|, |v121|, v48                        // 000000003C5C: D1D30330 04C2F378
	v_max3_f32 v48, |v122|, |v123|, v48                        // 000000003C64: D1D30330 04C2F77A
	buffer_load_dwordx4 a[76:79], v33, s[20:23], 0 offen       // 000000003C6C: E05C1000 80854C21
	ds_write_b32 v11, v48 offset:5248                          // 000000003C74: D81A1480 0000300B
	v_sub_f32_e32 v49, v14, v15                                // 000000003C7C: 04621F0E
	v_cndmask_b32_e64 v49, v49, 0, s[40:41]                    // 000000003C80: D1000031 00A10131
	v_mov_b32_e32 v14, v15                                     // 000000003C88: 7E1C030F
	v_mul_f32_e32 v49, s64, v49                                // 000000003C8C: 0A626240
	v_exp_f32_e32 v49, v49                                     // 000000003C90: 7E624131
	s_waitcnt lgkmcnt(0)                                       // 000000003C94: BF8CC07F
	s_barrier                                                  // 000000003C98: BF8A0000
	ds_read_b32 v64, v10 offset:5248                           // 000000003C9C: D86C1480 4000000A
	ds_read_b32 v65, v10 offset:5312                           // 000000003CA4: D86C14C0 4100000A
	ds_read_b32 v66, v10 offset:5376                           // 000000003CAC: D86C1500 4200000A
	ds_read_b32 v67, v10 offset:5440                           // 000000003CB4: D86C1540 4300000A
	ds_read_b32 v68, v10 offset:5504                           // 000000003CBC: D86C1580 4400000A
	ds_read_b32 v69, v10 offset:5568                           // 000000003CC4: D86C15C0 4500000A
	ds_read_b32 v70, v10 offset:5632                           // 000000003CCC: D86C1600 4600000A
	ds_read_b32 v71, v10 offset:5696                           // 000000003CD4: D86C1640 4700000A
	ds_read_b32 v72, v10 offset:5760                           // 000000003CDC: D86C1680 4800000A
	ds_read_b32 v73, v10 offset:5824                           // 000000003CE4: D86C16C0 4900000A
	ds_read_b32 v74, v10 offset:5888                           // 000000003CEC: D86C1700 4A00000A
	ds_read_b32 v75, v10 offset:5952                           // 000000003CF4: D86C1740 4B00000A
	ds_read_b32 v76, v10 offset:6016                           // 000000003CFC: D86C1780 4C00000A
	ds_read_b32 v77, v10 offset:6080                           // 000000003D04: D86C17C0 4D00000A
	ds_read_b32 v78, v10 offset:6144                           // 000000003D0C: D86C1800 4E00000A
	ds_read_b32 v79, v10 offset:6208                           // 000000003D14: D86C1840 4F00000A
	v_mul_f32_e32 v42, v49, v42                                // 000000003D1C: 0A545531
	v_mov_b32_e32 v43, v88                                     // 000000003D20: 7E560358
	v_add_f32_e32 v43, v89, v43                                // 000000003D24: 02565759
	v_add_f32_e32 v43, v90, v43                                // 000000003D28: 0256575A
	v_add_f32_e32 v43, v91, v43                                // 000000003D2C: 0256575B
	v_add_f32_e32 v43, v92, v43                                // 000000003D30: 0256575C
	v_add_f32_e32 v43, v93, v43                                // 000000003D34: 0256575D
	v_add_f32_e32 v43, v94, v43                                // 000000003D38: 0256575E
	v_add_f32_e32 v43, v95, v43                                // 000000003D3C: 0256575F
	v_add_f32_e32 v42, v43, v42                                // 000000003D40: 0254552B
	s_waitcnt lgkmcnt(0)                                       // 000000003D44: BF8CC07F
	v_max3_f32 v48, |v64|, |v65|, v48                          // 000000003D48: D1D30330 04C28340
	v_max3_f32 v48, |v66|, |v67|, v48                          // 000000003D50: D1D30330 04C28742
	v_max3_f32 v48, |v68|, |v69|, v48                          // 000000003D58: D1D30330 04C28B44
	v_max3_f32 v48, |v70|, |v71|, v48                          // 000000003D60: D1D30330 04C28F46
	v_max3_f32 v48, |v72|, |v73|, v48                          // 000000003D68: D1D30330 04C29348
	v_max3_f32 v48, |v74|, |v75|, v48                          // 000000003D70: D1D30330 04C2974A
	v_max3_f32 v48, |v76|, |v77|, v48                          // 000000003D78: D1D30330 04C29B4C
	v_max3_f32 v48, |v78|, |v79|, v48                          // 000000003D80: D1D30330 04C29F4E
	s_nop 2                                                    // 000000003D88: BF800002
	v_mov_b32_dpp v38, v48 row_ror:8 row_mask:0xf bank_mask:0xf// 000000003D8C: 7E4C02FA FF012830
	v_max_f32_e32 v48, v48, v38                                // 000000003D94: 16604D30
	v_rcp_f32_e32 v48, v48                                     // 000000003D98: 7E604530
	s_nop 1                                                    // 000000003D9C: BF800001
	v_mul_f32_e32 v48, 0x43700000, v48                         // 000000003DA0: 0A6060FF 43700000
	v_mul_f32_e32 v88, v48, v116                               // 000000003DA8: 0AB0E930
	v_mul_f32_e32 v89, v48, v117                               // 000000003DAC: 0AB2EB30
	v_mul_f32_e32 v90, v48, v118                               // 000000003DB0: 0AB4ED30
	v_mul_f32_e32 v91, v48, v119                               // 000000003DB4: 0AB6EF30
	v_mul_f32_e32 v92, v48, v120                               // 000000003DB8: 0AB8F130
	v_mul_f32_e32 v93, v48, v121                               // 000000003DBC: 0ABAF330
	v_mul_f32_e32 v94, v48, v122                               // 000000003DC0: 0ABCF530
	v_mul_f32_e32 v95, v48, v123                               // 000000003DC4: 0ABEF730
	v_cvt_pk_fp8_f32 v88, v88, v89                             // 000000003DC8: D2A20058 0002B358
	v_cvt_pk_fp8_f32 v88, v90, v91 op_sel:[0,0,1]              // 000000003DD0: D2A24058 0002B75A
	v_cvt_pk_fp8_f32 v89, v92, v93                             // 000000003DD8: D2A20059 0002BB5C
	v_cvt_pk_fp8_f32 v89, v94, v95 op_sel:[0,0,1]              // 000000003DE0: D2A24059 0002BF5E
	ds_write_b32 v13, v88 offset:6272                          // 000000003DE8: D81A1880 0000580D
	ds_write_b32 v13, v89 offset:7296                          // 000000003DF0: D81A1C80 0000590D
	v_mul_f32_e32 v104, v47, v104                              // 000000003DF8: 0AD0D12F
	v_mul_f32_e32 v105, v47, v105                              // 000000003DFC: 0AD2D32F
	v_mul_f32_e32 v106, v47, v106                              // 000000003E00: 0AD4D52F
	v_mul_f32_e32 v107, v47, v107                              // 000000003E04: 0AD6D72F
	v_rcp_f32_e32 v47, v48                                     // 000000003E08: 7E5E4530
	s_waitcnt lgkmcnt(0)                                       // 000000003E0C: BF8CC07F
	s_barrier                                                  // 000000003E10: BF8A0000
	ds_read_b64 v[88:89], v12 offset:6272                      // 000000003E14: D8EC1880 5800000C
	ds_read_b64 v[90:91], v12 offset:6400                      // 000000003E1C: D8EC1900 5A00000C
	ds_read_b64 v[92:93], v12 offset:7296                      // 000000003E24: D8EC1C80 5C00000C
	ds_read_b64 v[94:95], v12 offset:7424                      // 000000003E2C: D8EC1D00 5E00000C
	v_add_f32_e32 v112, v112, v104                             // 000000003E34: 02E0D170
	v_add_f32_e32 v113, v113, v105                             // 000000003E38: 02E2D371
	v_add_f32_e32 v114, v114, v106                             // 000000003E3C: 02E4D572
	v_add_f32_e32 v115, v115, v107                             // 000000003E40: 02E6D773
	s_waitcnt lgkmcnt(3)                                       // 000000003E44: BF8CC37F
	v_mov_b32_dpp v96, v88 row_shl:8 row_mask:0xf bank_mask:0xf bound_ctrl:1// 000000003E48: 7EC002FA FF090858
	v_and_b32_e32 v88, v88, v9                                 // 000000003E50: 26B01358
	v_mov_b32_dpp v97, v89 row_shl:8 row_mask:0xf bank_mask:0xf bound_ctrl:1// 000000003E54: 7EC202FA FF090859
	v_and_b32_e32 v89, v89, v9                                 // 000000003E5C: 26B21359
	s_waitcnt lgkmcnt(2)                                       // 000000003E60: BF8CC27F
	v_mov_b32_dpp v98, v90 row_shl:8 row_mask:0xf bank_mask:0xf bound_ctrl:1// 000000003E64: 7EC402FA FF09085A
	v_and_b32_e32 v90, v90, v9                                 // 000000003E6C: 26B4135A
	v_mov_b32_dpp v99, v91 row_shl:8 row_mask:0xf bank_mask:0xf bound_ctrl:1// 000000003E70: 7EC602FA FF09085B
	v_and_b32_e32 v91, v91, v9                                 // 000000003E78: 26B6135B
	s_waitcnt lgkmcnt(1)                                       // 000000003E7C: BF8CC17F
	v_mov_b32_dpp v100, v92 row_shl:8 row_mask:0xf bank_mask:0xf bound_ctrl:1// 000000003E80: 7EC802FA FF09085C
	v_and_b32_e32 v92, v92, v9                                 // 000000003E88: 26B8135C
	v_mov_b32_dpp v101, v93 row_shl:8 row_mask:0xf bank_mask:0xf bound_ctrl:1// 000000003E8C: 7ECA02FA FF09085D
	v_and_b32_e32 v93, v93, v9                                 // 000000003E94: 26BA135D
	s_waitcnt lgkmcnt(0)                                       // 000000003E98: BF8CC07F
	v_mov_b32_dpp v102, v94 row_shl:8 row_mask:0xf bank_mask:0xf bound_ctrl:1// 000000003E9C: 7ECC02FA FF09085E
	v_and_b32_e32 v94, v94, v9                                 // 000000003EA4: 26BC135E
	v_mov_b32_dpp v103, v95 row_shl:8 row_mask:0xf bank_mask:0xf bound_ctrl:1// 000000003EA8: 7ECE02FA FF09085F
	v_and_b32_e32 v95, v95, v9                                 // 000000003EB0: 26BE135F
	s_waitcnt vmcnt(15)                                        // 000000003EB4: BF8C0F7F
	v_mfma_f32_16x16x32_fp8_fp8 v[104:107], a[96:97], v[88:89], 0// 000000003EB8: D3F30068 0A02B160
	buffer_load_dwordx4 a[80:83], v30, s[20:23], 0 offen offset:1024// 000000003EC0: E05C1400 8085501E
	v_mfma_f32_16x16x32_fp8_fp8 v[104:107], a[98:99], v[90:91], v[104:107]// 000000003EC8: D3F30068 0DA2B562
	v_mfma_f32_16x16x32_fp8_fp8 v[104:107], a[100:101], v[92:93], v[104:107]// 000000003ED0: D3F30068 0DA2B964
	v_mfma_f32_16x16x32_fp8_fp8 v[104:107], a[102:103], v[94:95], v[104:107]// 000000003ED8: D3F30068 0DA2BD66
	v_mfma_f32_16x16x32_fp8_fp8 v[104:107], a[104:105], v[96:97], v[104:107]// 000000003EE0: D3F30068 0DA2C168
	buffer_load_dwordx4 a[84:87], v31, s[20:23], 0 offen offset:1024// 000000003EE8: E05C1400 8085541F
	v_mfma_f32_16x16x32_fp8_fp8 v[104:107], a[106:107], v[98:99], v[104:107]// 000000003EF0: D3F30068 0DA2C56A
	v_mfma_f32_16x16x32_fp8_fp8 v[104:107], a[108:109], v[100:101], v[104:107]// 000000003EF8: D3F30068 0DA2C96C
	v_mfma_f32_16x16x32_fp8_fp8 v[104:107], a[110:111], v[102:103], v[104:107]// 000000003F00: D3F30068 0DA2CD6E
	v_mfma_f32_16x16x32_fp8_fp8 v[108:111], a[112:113], v[88:89], 0// 000000003F08: D3F3006C 0A02B170
	buffer_load_dwordx4 a[88:91], v32, s[20:23], 0 offen offset:1024// 000000003F10: E05C1400 80855820
	v_mfma_f32_16x16x32_fp8_fp8 v[108:111], a[114:115], v[90:91], v[108:111]// 000000003F18: D3F3006C 0DB2B572
	v_mfma_f32_16x16x32_fp8_fp8 v[108:111], a[116:117], v[92:93], v[108:111]// 000000003F20: D3F3006C 0DB2B974
	v_mfma_f32_16x16x32_fp8_fp8 v[108:111], a[118:119], v[94:95], v[108:111]// 000000003F28: D3F3006C 0DB2BD76
	v_mfma_f32_16x16x32_fp8_fp8 v[108:111], a[120:121], v[96:97], v[108:111]// 000000003F30: D3F3006C 0DB2C178
	buffer_load_dwordx4 a[92:95], v33, s[20:23], 0 offen offset:1024// 000000003F38: E05C1400 80855C21
	v_mfma_f32_16x16x32_fp8_fp8 v[108:111], a[122:123], v[98:99], v[108:111]// 000000003F40: D3F3006C 0DB2C57A
	v_mfma_f32_16x16x32_fp8_fp8 v[108:111], a[124:125], v[100:101], v[108:111]// 000000003F48: D3F3006C 0DB2C97C
	s_lshr_b32 s57, s70, 4                                     // 000000003F50: 8F398446
	s_add_u32 s57, 48, s57                                     // 000000003F54: 803939B0
	v_mfma_f32_16x16x32_fp8_fp8 v[108:111], a[126:127], v[102:103], v[108:111]// 000000003F58: D3F3006C 0DB2CD7E
	s_cmp_ge_u32 s57, s73                                      // 000000003F60: BF094939
	s_cselect_b32 s56, 0, s56                                  // 000000003F64: 85383880
	v_add_u32_e32 v1, s56, v1                                  // 000000003F68: 68020238
	s_addk_i32 s70, 0x100                                      // 000000003F6C: B7460100
	s_cmp_lt_i32 s70, s71                                      // 000000003F70: BF044746
	s_cbranch_scc0 label_05A9                                  // 000000003F74: BF84FC49
	s_branch label_05AC                                        // 000000003F78: BF82FC4B

0000000000003f7c <label_0961>:
	s_lshr_b32 s60, s71, 4                                     // 000000003F7C: 8F3C8447
	s_cmp_eq_i32 s60, s73                                      // 000000003F80: BF00493C
	s_cbranch_scc1 label_0D22                                  // 000000003F84: BF8503BE
	s_lshr_b32 s60, s71, 8                                     // 000000003F88: 8F3C8847
	s_and_b32 s60, s60, 1                                      // 000000003F8C: 863C813C
	s_cmp_eq_i32 s60, 1                                        // 000000003F90: BF00813C
	s_cbranch_scc1 label_0B45                                  // 000000003F94: BF8501DD
	s_waitcnt vmcnt(8) lgkmcnt(0)                              // 000000003F98: BF8C0078
	s_barrier                                                  // 000000003F9C: BF8A0000
	v_mfma_f32_16x16x32_fp8_fp8 v[88:91], a[0:1], v[80:81], 0  // 000000003FA0: D3F30058 0A02A100
	v_mfma_f32_16x16x32_fp8_fp8 v[88:91], a[2:3], v[82:83], v[88:91]// 000000003FA8: D3F30058 0D62A502
	v_mfma_f32_16x16x32_fp8_fp8 v[88:91], a[4:5], v[84:85], v[88:91]// 000000003FB0: D3F30058 0D62A904
	v_mfma_f32_16x16x32_fp8_fp8 v[88:91], a[6:7], v[86:87], v[88:91]// 000000003FB8: D3F30058 0D62AD06
	v_mfma_f32_16x16x32_fp8_fp8 v[92:95], a[8:9], v[80:81], 0  // 000000003FC0: D3F3005C 0A02A108
	v_mfma_f32_16x16x32_fp8_fp8 v[92:95], a[10:11], v[82:83], v[92:95]// 000000003FC8: D3F3005C 0D72A50A
	v_mfma_f32_16x16x32_fp8_fp8 v[92:95], a[12:13], v[84:85], v[92:95]// 000000003FD0: D3F3005C 0D72A90C
	v_mfma_f32_16x16x32_fp8_fp8 v[92:95], a[14:15], v[86:87], v[92:95]// 000000003FD8: D3F3005C 0D72AD0E
	v_mfma_f32_16x16x32_fp8_fp8 v[96:99], a[16:17], v[80:81], 0// 000000003FE0: D3F30060 0A02A110
	v_mfma_f32_16x16x32_fp8_fp8 v[96:99], a[18:19], v[82:83], v[96:99]// 000000003FE8: D3F30060 0D82A512
	v_mfma_f32_16x16x32_fp8_fp8 v[96:99], a[20:21], v[84:85], v[96:99]// 000000003FF0: D3F30060 0D82A914
	v_mfma_f32_16x16x32_fp8_fp8 v[96:99], a[22:23], v[86:87], v[96:99]// 000000003FF8: D3F30060 0D82AD16
	v_mfma_f32_16x16x32_fp8_fp8 v[100:103], a[24:25], v[80:81], 0// 000000004000: D3F30064 0A02A118
	v_mfma_f32_16x16x32_fp8_fp8 v[100:103], a[26:27], v[82:83], v[100:103]// 000000004008: D3F30064 0D92A51A
	v_mfma_f32_16x16x32_fp8_fp8 v[100:103], a[28:29], v[84:85], v[100:103]// 000000004010: D3F30064 0D92A91C
	v_mfma_f32_16x16x32_fp8_fp8 v[100:103], a[30:31], v[86:87], v[100:103]// 000000004018: D3F30064 0D92AD1E
	v_mov_b32_dpp v38, v44 row_shr:4 row_mask:0xf bank_mask:0xf// 000000004020: 7E4C02FA FF01142C
	v_mov_b32_dpp v39, v44 row_shl:4 row_mask:0xf bank_mask:0xf// 000000004028: 7E4E02FA FF01042C
	v_cndmask_b32_e64 v18, v44, v38, s[44:45]                  // 000000004030: D1000012 00B24D2C
	v_cndmask_b32_e64 v19, v39, v44, s[44:45]                  // 000000004038: D1000013 00B25927
	v_mov_b32_dpp v38, v55 row_shr:4 row_mask:0xf bank_mask:0xf// 000000004040: 7E4C02FA FF011437
	v_mov_b32_dpp v39, v55 row_shl:4 row_mask:0xf bank_mask:0xf// 000000004048: 7E4E02FA FF010437
	v_cndmask_b32_e64 v20, v55, v38, s[44:45]                  // 000000004050: D1000014 00B24D37
	v_cndmask_b32_e64 v21, v39, v55, s[44:45]                  // 000000004058: D1000015 00B26F27
	v_or_b32_dpp v88, v96, v88 row_shr:8 row_mask:0xf bank_mask:0xf bound_ctrl:1// 000000004060: 28B0B0FA FF091860
	v_or_b32_dpp v89, v97, v89 row_shr:8 row_mask:0xf bank_mask:0xf bound_ctrl:1// 000000004068: 28B2B2FA FF091861
	v_or_b32_dpp v90, v98, v90 row_shr:8 row_mask:0xf bank_mask:0xf bound_ctrl:1// 000000004070: 28B4B4FA FF091862
	v_or_b32_dpp v91, v99, v91 row_shr:8 row_mask:0xf bank_mask:0xf bound_ctrl:1// 000000004078: 28B6B6FA FF091863
	v_or_b32_dpp v92, v100, v92 row_shr:8 row_mask:0xf bank_mask:0xf bound_ctrl:1// 000000004080: 28B8B8FA FF091864
	v_or_b32_dpp v93, v101, v93 row_shr:8 row_mask:0xf bank_mask:0xf bound_ctrl:1// 000000004088: 28BABAFA FF091865
	v_or_b32_dpp v94, v102, v94 row_shr:8 row_mask:0xf bank_mask:0xf bound_ctrl:1// 000000004090: 28BCBCFA FF091866
	v_or_b32_dpp v95, v103, v95 row_shr:8 row_mask:0xf bank_mask:0xf bound_ctrl:1// 000000004098: 28BEBEFA FF091867
	v_mul_f32_e32 v88, v46, v88                                // 0000000040A0: 0AB0B12E
	v_mul_f32_e32 v89, v46, v89                                // 0000000040A4: 0AB2B32E
	v_mul_f32_e32 v90, v46, v90                                // 0000000040A8: 0AB4B52E
	v_mul_f32_e32 v91, v46, v91                                // 0000000040AC: 0AB6B72E
	v_mul_f32_e32 v92, v46, v92                                // 0000000040B0: 0AB8B92E
	v_mul_f32_e32 v93, v46, v93                                // 0000000040B4: 0ABABB2E
	v_mul_f32_e32 v94, v46, v94                                // 0000000040B8: 0ABCBD2E
	v_mul_f32_e32 v95, v46, v95                                // 0000000040BC: 0ABEBF2E
	v_mul_f32_dpp v88, v18, v88 quad_perm:[0,0,0,0] row_mask:0xf bank_mask:0xf// 0000000040C0: 0AB0B0FA FF000012
	v_mul_f32_dpp v89, v18, v89 quad_perm:[1,1,1,1] row_mask:0xf bank_mask:0xf// 0000000040C8: 0AB2B2FA FF005512
	v_mul_f32_dpp v90, v18, v90 quad_perm:[2,2,2,2] row_mask:0xf bank_mask:0xf// 0000000040D0: 0AB4B4FA FF00AA12
	v_mul_f32_dpp v91, v18, v91 quad_perm:[3,3,3,3] row_mask:0xf bank_mask:0xf// 0000000040D8: 0AB6B6FA FF00FF12
	v_mul_f32_dpp v92, v19, v92 quad_perm:[0,0,0,0] row_mask:0xf bank_mask:0xf// 0000000040E0: 0AB8B8FA FF000013
	v_mul_f32_dpp v93, v19, v93 quad_perm:[1,1,1,1] row_mask:0xf bank_mask:0xf// 0000000040E8: 0ABABAFA FF005513
	v_mul_f32_dpp v94, v19, v94 quad_perm:[2,2,2,2] row_mask:0xf bank_mask:0xf// 0000000040F0: 0ABCBCFA FF00AA13
	v_mul_f32_dpp v95, v19, v95 quad_perm:[3,3,3,3] row_mask:0xf bank_mask:0xf// 0000000040F8: 0ABEBEFA FF00FF13
	s_and_b32 s60, s72, 0xff                                   // 000000004100: 863CFF48 000000FF
	v_mov_b32_e32 v62, s60                                     // 000000004108: 7E7C023C
	v_lshrrev_b32_e32 v116, 4, v0                              // 00000000410C: 20E80084
	v_mul_i32_i24_e32 v116, 4, v116                            // 000000004110: 0CE8E884
	v_and_b32_e32 v38, 15, v0                                  // 000000004114: 264C008F
	v_lshrrev_b32_e32 v38, 3, v38                              // 000000004118: 204C4C83
	v_mul_i32_i24_e32 v38, 0x80, v38                           // 00000000411C: 0C4C4CFF 00000080
	v_add_u32_e32 v116, v38, v116                              // 000000004124: 68E8E926
	s_mul_i32 s60, s7, 16                                      // 000000004128: 923C9007
	v_add_u32_e32 v116, s60, v116                              // 00000000412C: 68E8E83C
	v_add_u32_e32 v117, 1, v116                                // 000000004130: 68EAE881
	v_add_u32_e32 v118, 2, v116                                // 000000004134: 68ECE882
	v_add_u32_e32 v119, 3, v116                                // 000000004138: 68EEE883
	v_cmp_lt_u32_e64 s[40:41], v116, v62                       // 00000000413C: D0C90028 00027D74
	v_add_u32_e32 v116, 64, v116                               // 000000004144: 68E8E8C0
	s_nop 0                                                    // 000000004148: BF800000
	v_cndmask_b32_e64 v88, v52, v88, s[40:41]                  // 00000000414C: D1000058 00A2B134
	v_cmp_lt_u32_e64 s[40:41], v117, v62                       // 000000004154: D0C90028 00027D75
	v_add_u32_e32 v117, 64, v117                               // 00000000415C: 68EAEAC0
	s_nop 0                                                    // 000000004160: BF800000
	v_cndmask_b32_e64 v89, v52, v89, s[40:41]                  // 000000004164: D1000059 00A2B334
	v_cmp_lt_u32_e64 s[40:41], v118, v62                       // 00000000416C: D0C90028 00027D76
	v_add_u32_e32 v118, 64, v118                               // 000000004174: 68ECECC0
	s_nop 0                                                    // 000000004178: BF800000
	v_cndmask_b32_e64 v90, v52, v90, s[40:41]                  // 00000000417C: D100005A 00A2B534
	v_cmp_lt_u32_e64 s[40:41], v119, v62                       // 000000004184: D0C90028 00027D77
	v_add_u32_e32 v119, 64, v119                               // 00000000418C: 68EEEEC0
	s_nop 0                                                    // 000000004190: BF800000
	v_cndmask_b32_e64 v91, v52, v91, s[40:41]                  // 000000004194: D100005B 00A2B734
	v_cmp_lt_u32_e64 s[40:41], v116, v62                       // 00000000419C: D0C90028 00027D74
	v_add_u32_e32 v116, 64, v116                               // 0000000041A4: 68E8E8C0
	s_nop 0                                                    // 0000000041A8: BF800000
	v_cndmask_b32_e64 v92, v52, v92, s[40:41]                  // 0000000041AC: D100005C 00A2B934
	v_cmp_lt_u32_e64 s[40:41], v117, v62                       // 0000000041B4: D0C90028 00027D75
	v_add_u32_e32 v117, 64, v117                               // 0000000041BC: 68EAEAC0
	s_nop 0                                                    // 0000000041C0: BF800000
	v_cndmask_b32_e64 v93, v52, v93, s[40:41]                  // 0000000041C4: D100005D 00A2BB34
	v_cmp_lt_u32_e64 s[40:41], v118, v62                       // 0000000041CC: D0C90028 00027D76
	v_add_u32_e32 v118, 64, v118                               // 0000000041D4: 68ECECC0
	s_nop 0                                                    // 0000000041D8: BF800000
	v_cndmask_b32_e64 v94, v52, v94, s[40:41]                  // 0000000041DC: D100005E 00A2BD34
	v_cmp_lt_u32_e64 s[40:41], v119, v62                       // 0000000041E4: D0C90028 00027D77
	v_add_u32_e32 v119, 64, v119                               // 0000000041EC: 68EEEEC0
	s_nop 0                                                    // 0000000041F0: BF800000
	v_cndmask_b32_e64 v95, v52, v95, s[40:41]                  // 0000000041F4: D100005F 00A2BF34
	v_mov_b32_e32 v48, v88                                     // 0000000041FC: 7E600358
	v_max3_f32 v48, v88, v89, v48                              // 000000004200: D1D30030 04C2B358
	v_max3_f32 v48, v90, v91, v48                              // 000000004208: D1D30030 04C2B75A
	v_max3_f32 v48, v92, v93, v48                              // 000000004210: D1D30030 04C2BB5C
	v_max3_f32 v48, v94, v95, v48                              // 000000004218: D1D30030 04C2BF5E
	ds_write_b32 v11, v48 offset:4224                          // 000000004220: D81A1080 0000300B
	v_mul_u32_u24_dpp v38, v17, v51 row_newbcast:1 row_mask:0xf bank_mask:0xf// 000000004228: 104C66FA FF015111
	v_mul_u32_u24_dpp v39, v17, v51 row_newbcast:5 row_mask:0xf bank_mask:0xf// 000000004230: 104E66FA FF015511
	v_mul_u32_u24_dpp v40, v17, v51 row_newbcast:9 row_mask:0xf bank_mask:0xf// 000000004238: 105066FA FF015911
	v_mul_u32_u24_dpp v41, v17, v51 row_newbcast:13 row_mask:0xf bank_mask:0xf// 000000004240: 105266FA FF015D11
	v_add_u32_e32 v34, v38, v7                                 // 000000004248: 68440F26
	v_add_u32_e32 v35, v39, v7                                 // 00000000424C: 68460F27
	v_add_u32_e32 v36, v40, v7                                 // 000000004250: 68480F28
	v_add_u32_e32 v37, v41, v7                                 // 000000004254: 684A0F29
	s_waitcnt lgkmcnt(0)                                       // 000000004258: BF8CC07F
	s_barrier                                                  // 00000000425C: BF8A0000
	ds_read_b32 v64, v10 offset:4224                           // 000000004260: D86C1080 4000000A
	ds_read_b32 v65, v10 offset:4288                           // 000000004268: D86C10C0 4100000A
	ds_read_b32 v66, v10 offset:4352                           // 000000004270: D86C1100 4200000A
	ds_read_b32 v67, v10 offset:4416                           // 000000004278: D86C1140 4300000A
	ds_read_b32 v68, v10 offset:4480                           // 000000004280: D86C1180 4400000A
	ds_read_b32 v69, v10 offset:4544                           // 000000004288: D86C11C0 4500000A
	ds_read_b32 v70, v10 offset:4608                           // 000000004290: D86C1200 4600000A
	ds_read_b32 v71, v10 offset:4672                           // 000000004298: D86C1240 4700000A
	ds_read_b32 v72, v10 offset:4736                           // 0000000042A0: D86C1280 4800000A
	ds_read_b32 v73, v10 offset:4800                           // 0000000042A8: D86C12C0 4900000A
	ds_read_b32 v74, v10 offset:4864                           // 0000000042B0: D86C1300 4A00000A
	ds_read_b32 v75, v10 offset:4928                           // 0000000042B8: D86C1340 4B00000A
	ds_read_b32 v76, v10 offset:4992                           // 0000000042C0: D86C1380 4C00000A
	ds_read_b32 v77, v10 offset:5056                           // 0000000042C8: D86C13C0 4D00000A
	ds_read_b32 v78, v10 offset:5120                           // 0000000042D0: D86C1400 4E00000A
	ds_read_b32 v79, v10 offset:5184                           // 0000000042D8: D86C1440 4F00000A
	v_mul_f32_e32 v112, v49, v112                              // 0000000042E0: 0AE0E131
	v_mul_f32_e32 v113, v49, v113                              // 0000000042E4: 0AE2E331
	v_mul_f32_e32 v114, v49, v114                              // 0000000042E8: 0AE4E531
	v_mul_f32_e32 v115, v49, v115                              // 0000000042EC: 0AE6E731
	v_or_b32_dpp v104, v108, v104 row_shr:8 row_mask:0xf bank_mask:0xf bound_ctrl:1// 0000000042F0: 28D0D0FA FF09186C
	v_or_b32_dpp v105, v109, v105 row_shr:8 row_mask:0xf bank_mask:0xf bound_ctrl:1// 0000000042F8: 28D2D2FA FF09186D
	v_or_b32_dpp v106, v110, v106 row_shr:8 row_mask:0xf bank_mask:0xf bound_ctrl:1// 000000004300: 28D4D4FA FF09186E
	v_or_b32_dpp v107, v111, v107 row_shr:8 row_mask:0xf bank_mask:0xf bound_ctrl:1// 000000004308: 28D6D6FA FF09186F
	s_waitcnt lgkmcnt(0)                                       // 000000004310: BF8CC07F
	v_max3_f32 v48, v64, v65, v48                              // 000000004314: D1D30030 04C28340
	v_max3_f32 v48, v66, v67, v48                              // 00000000431C: D1D30030 04C28742
	v_max3_f32 v48, v68, v69, v48                              // 000000004324: D1D30030 04C28B44
	v_max3_f32 v48, v70, v71, v48                              // 00000000432C: D1D30030 04C28F46
	v_max3_f32 v48, v72, v73, v48                              // 000000004334: D1D30030 04C29348
	v_max3_f32 v48, v74, v75, v48                              // 00000000433C: D1D30030 04C2974A
	v_max3_f32 v48, v76, v77, v48                              // 000000004344: D1D30030 04C29B4C
	v_max3_f32 v48, v78, v79, v48                              // 00000000434C: D1D30030 04C29F4E
	v_cmp_eq_u32_e64 s[40:41], v52, v14                        // 000000004354: D0CA0028 00021D34
	s_nop 1                                                    // 00000000435C: BF800001
	v_mov_b32_dpp v38, v48 row_ror:8 row_mask:0xf bank_mask:0xf// 000000004360: 7E4C02FA FF012830
	v_max_f32_e32 v48, v48, v38                                // 000000004368: 16604D30
	v_max_f32_e32 v15, v48, v14                                // 00000000436C: 161E1D30
	v_mul_f32_e32 v50, s64, v15                                // 000000004370: 0A641E40
	v_fma_f32 v88, v88, s64, -v50                              // 000000004374: D1CB0058 84C88158
	v_fma_f32 v89, v89, s64, -v50                              // 00000000437C: D1CB0059 84C88159
	v_fma_f32 v90, v90, s64, -v50                              // 000000004384: D1CB005A 84C8815A
	v_fma_f32 v91, v91, s64, -v50                              // 00000000438C: D1CB005B 84C8815B
	v_fma_f32 v92, v92, s64, -v50                              // 000000004394: D1CB005C 84C8815C
	v_fma_f32 v93, v93, s64, -v50                              // 00000000439C: D1CB005D 84C8815D
	v_fma_f32 v94, v94, s64, -v50                              // 0000000043A4: D1CB005E 84C8815E
	v_fma_f32 v95, v95, s64, -v50                              // 0000000043AC: D1CB005F 84C8815F
	v_exp_f32_e32 v88, v88                                     // 0000000043B4: 7EB04158
	v_exp_f32_e32 v89, v89                                     // 0000000043B8: 7EB24159
	v_exp_f32_e32 v90, v90                                     // 0000000043BC: 7EB4415A
	v_exp_f32_e32 v91, v91                                     // 0000000043C0: 7EB6415B
	v_exp_f32_e32 v92, v92                                     // 0000000043C4: 7EB8415C
	v_exp_f32_e32 v93, v93                                     // 0000000043C8: 7EBA415D
	v_exp_f32_e32 v94, v94                                     // 0000000043CC: 7EBC415E
	v_exp_f32_e32 v95, v95                                     // 0000000043D0: 7EBE415F
	v_mul_f32_dpp v116, v20, v88 quad_perm:[0,0,0,0] row_mask:0xf bank_mask:0xf// 0000000043D4: 0AE8B0FA FF000014
	v_mul_f32_dpp v117, v20, v89 quad_perm:[1,1,1,1] row_mask:0xf bank_mask:0xf// 0000000043DC: 0AEAB2FA FF005514
	v_mul_f32_dpp v118, v20, v90 quad_perm:[2,2,2,2] row_mask:0xf bank_mask:0xf// 0000000043E4: 0AECB4FA FF00AA14
	v_mul_f32_dpp v119, v20, v91 quad_perm:[3,3,3,3] row_mask:0xf bank_mask:0xf// 0000000043EC: 0AEEB6FA FF00FF14
	v_mul_f32_dpp v120, v21, v92 quad_perm:[0,0,0,0] row_mask:0xf bank_mask:0xf// 0000000043F4: 0AF0B8FA FF000015
	v_mul_f32_dpp v121, v21, v93 quad_perm:[1,1,1,1] row_mask:0xf bank_mask:0xf// 0000000043FC: 0AF2BAFA FF005515
	v_mul_f32_dpp v122, v21, v94 quad_perm:[2,2,2,2] row_mask:0xf bank_mask:0xf// 000000004404: 0AF4BCFA FF00AA15
	v_mul_f32_dpp v123, v21, v95 quad_perm:[3,3,3,3] row_mask:0xf bank_mask:0xf// 00000000440C: 0AF6BEFA FF00FF15
	v_mov_b32_e32 v48, 0x358637bd                              // 000000004414: 7E6002FF 358637BD
	v_max3_f32 v48, |v116|, |v117|, v48                        // 00000000441C: D1D30330 04C2EB74
	v_max3_f32 v48, |v118|, |v119|, v48                        // 000000004424: D1D30330 04C2EF76
	v_max3_f32 v48, |v120|, |v121|, v48                        // 00000000442C: D1D30330 04C2F378
	v_max3_f32 v48, |v122|, |v123|, v48                        // 000000004434: D1D30330 04C2F77A
	ds_write_b32 v11, v48 offset:5248                          // 00000000443C: D81A1480 0000300B
	v_sub_f32_e32 v49, v14, v15                                // 000000004444: 04621F0E
	v_cndmask_b32_e64 v49, v49, 0, s[40:41]                    // 000000004448: D1000031 00A10131
	v_mov_b32_e32 v14, v15                                     // 000000004450: 7E1C030F
	v_mul_f32_e32 v49, s64, v49                                // 000000004454: 0A626240
	v_exp_f32_e32 v49, v49                                     // 000000004458: 7E624131
	s_waitcnt lgkmcnt(0)                                       // 00000000445C: BF8CC07F
	s_barrier                                                  // 000000004460: BF8A0000
	ds_read_b32 v64, v10 offset:5248                           // 000000004464: D86C1480 4000000A
	ds_read_b32 v65, v10 offset:5312                           // 00000000446C: D86C14C0 4100000A
	ds_read_b32 v66, v10 offset:5376                           // 000000004474: D86C1500 4200000A
	ds_read_b32 v67, v10 offset:5440                           // 00000000447C: D86C1540 4300000A
	ds_read_b32 v68, v10 offset:5504                           // 000000004484: D86C1580 4400000A
	ds_read_b32 v69, v10 offset:5568                           // 00000000448C: D86C15C0 4500000A
	ds_read_b32 v70, v10 offset:5632                           // 000000004494: D86C1600 4600000A
	ds_read_b32 v71, v10 offset:5696                           // 00000000449C: D86C1640 4700000A
	ds_read_b32 v72, v10 offset:5760                           // 0000000044A4: D86C1680 4800000A
	ds_read_b32 v73, v10 offset:5824                           // 0000000044AC: D86C16C0 4900000A
	ds_read_b32 v74, v10 offset:5888                           // 0000000044B4: D86C1700 4A00000A
	ds_read_b32 v75, v10 offset:5952                           // 0000000044BC: D86C1740 4B00000A
	ds_read_b32 v76, v10 offset:6016                           // 0000000044C4: D86C1780 4C00000A
	ds_read_b32 v77, v10 offset:6080                           // 0000000044CC: D86C17C0 4D00000A
	ds_read_b32 v78, v10 offset:6144                           // 0000000044D4: D86C1800 4E00000A
	ds_read_b32 v79, v10 offset:6208                           // 0000000044DC: D86C1840 4F00000A
	v_mul_f32_e32 v42, v49, v42                                // 0000000044E4: 0A545531
	v_mov_b32_e32 v43, v88                                     // 0000000044E8: 7E560358
	v_add_f32_e32 v43, v89, v43                                // 0000000044EC: 02565759
	v_add_f32_e32 v43, v90, v43                                // 0000000044F0: 0256575A
	v_add_f32_e32 v43, v91, v43                                // 0000000044F4: 0256575B
	v_add_f32_e32 v43, v92, v43                                // 0000000044F8: 0256575C
	v_add_f32_e32 v43, v93, v43                                // 0000000044FC: 0256575D
	v_add_f32_e32 v43, v94, v43                                // 000000004500: 0256575E
	v_add_f32_e32 v43, v95, v43                                // 000000004504: 0256575F
	v_add_f32_e32 v42, v43, v42                                // 000000004508: 0254552B
	s_waitcnt lgkmcnt(0)                                       // 00000000450C: BF8CC07F
	v_max3_f32 v48, |v64|, |v65|, v48                          // 000000004510: D1D30330 04C28340
	v_max3_f32 v48, |v66|, |v67|, v48                          // 000000004518: D1D30330 04C28742
	v_max3_f32 v48, |v68|, |v69|, v48                          // 000000004520: D1D30330 04C28B44
	v_max3_f32 v48, |v70|, |v71|, v48                          // 000000004528: D1D30330 04C28F46
	v_max3_f32 v48, |v72|, |v73|, v48                          // 000000004530: D1D30330 04C29348
	v_max3_f32 v48, |v74|, |v75|, v48                          // 000000004538: D1D30330 04C2974A
	v_max3_f32 v48, |v76|, |v77|, v48                          // 000000004540: D1D30330 04C29B4C
	v_max3_f32 v48, |v78|, |v79|, v48                          // 000000004548: D1D30330 04C29F4E
	s_nop 2                                                    // 000000004550: BF800002
	v_mov_b32_dpp v38, v48 row_ror:8 row_mask:0xf bank_mask:0xf// 000000004554: 7E4C02FA FF012830
	v_max_f32_e32 v48, v48, v38                                // 00000000455C: 16604D30
	v_rcp_f32_e32 v48, v48                                     // 000000004560: 7E604530
	s_nop 1                                                    // 000000004564: BF800001
	v_mul_f32_e32 v48, 0x43700000, v48                         // 000000004568: 0A6060FF 43700000
	v_mul_f32_e32 v88, v48, v116                               // 000000004570: 0AB0E930
	v_mul_f32_e32 v89, v48, v117                               // 000000004574: 0AB2EB30
	v_mul_f32_e32 v90, v48, v118                               // 000000004578: 0AB4ED30
	v_mul_f32_e32 v91, v48, v119                               // 00000000457C: 0AB6EF30
	v_mul_f32_e32 v92, v48, v120                               // 000000004580: 0AB8F130
	v_mul_f32_e32 v93, v48, v121                               // 000000004584: 0ABAF330
	v_mul_f32_e32 v94, v48, v122                               // 000000004588: 0ABCF530
	v_mul_f32_e32 v95, v48, v123                               // 00000000458C: 0ABEF730
	v_cvt_pk_fp8_f32 v88, v88, v89                             // 000000004590: D2A20058 0002B358
	v_cvt_pk_fp8_f32 v88, v90, v91 op_sel:[0,0,1]              // 000000004598: D2A24058 0002B75A
	v_cvt_pk_fp8_f32 v89, v92, v93                             // 0000000045A0: D2A20059 0002BB5C
	v_cvt_pk_fp8_f32 v89, v94, v95 op_sel:[0,0,1]              // 0000000045A8: D2A24059 0002BF5E
	ds_write_b32 v13, v88 offset:6272                          // 0000000045B0: D81A1880 0000580D
	ds_write_b32 v13, v89 offset:7296                          // 0000000045B8: D81A1C80 0000590D
	v_mul_f32_e32 v104, v47, v104                              // 0000000045C0: 0AD0D12F
	v_mul_f32_e32 v105, v47, v105                              // 0000000045C4: 0AD2D32F
	v_mul_f32_e32 v106, v47, v106                              // 0000000045C8: 0AD4D52F
	v_mul_f32_e32 v107, v47, v107                              // 0000000045CC: 0AD6D72F
	v_rcp_f32_e32 v47, v48                                     // 0000000045D0: 7E5E4530
	s_waitcnt lgkmcnt(0)                                       // 0000000045D4: BF8CC07F
	s_barrier                                                  // 0000000045D8: BF8A0000
	ds_read_b64 v[88:89], v12 offset:6272                      // 0000000045DC: D8EC1880 5800000C
	ds_read_b64 v[90:91], v12 offset:6400                      // 0000000045E4: D8EC1900 5A00000C
	ds_read_b64 v[92:93], v12 offset:7296                      // 0000000045EC: D8EC1C80 5C00000C
	ds_read_b64 v[94:95], v12 offset:7424                      // 0000000045F4: D8EC1D00 5E00000C
	v_add_f32_e32 v112, v112, v104                             // 0000000045FC: 02E0D170
	v_add_f32_e32 v113, v113, v105                             // 000000004600: 02E2D371
	v_add_f32_e32 v114, v114, v106                             // 000000004604: 02E4D572
	v_add_f32_e32 v115, v115, v107                             // 000000004608: 02E6D773
	s_waitcnt lgkmcnt(3)                                       // 00000000460C: BF8CC37F
	v_mov_b32_dpp v96, v88 row_shl:8 row_mask:0xf bank_mask:0xf bound_ctrl:1// 000000004610: 7EC002FA FF090858
	v_and_b32_e32 v88, v88, v9                                 // 000000004618: 26B01358
	v_mov_b32_dpp v97, v89 row_shl:8 row_mask:0xf bank_mask:0xf bound_ctrl:1// 00000000461C: 7EC202FA FF090859
	v_and_b32_e32 v89, v89, v9                                 // 000000004624: 26B21359
	s_waitcnt lgkmcnt(2)                                       // 000000004628: BF8CC27F
	v_mov_b32_dpp v98, v90 row_shl:8 row_mask:0xf bank_mask:0xf bound_ctrl:1// 00000000462C: 7EC402FA FF09085A
	v_and_b32_e32 v90, v90, v9                                 // 000000004634: 26B4135A
	v_mov_b32_dpp v99, v91 row_shl:8 row_mask:0xf bank_mask:0xf bound_ctrl:1// 000000004638: 7EC602FA FF09085B
	v_and_b32_e32 v91, v91, v9                                 // 000000004640: 26B6135B
	s_waitcnt lgkmcnt(1)                                       // 000000004644: BF8CC17F
	v_mov_b32_dpp v100, v92 row_shl:8 row_mask:0xf bank_mask:0xf bound_ctrl:1// 000000004648: 7EC802FA FF09085C
	v_and_b32_e32 v92, v92, v9                                 // 000000004650: 26B8135C
	v_mov_b32_dpp v101, v93 row_shl:8 row_mask:0xf bank_mask:0xf bound_ctrl:1// 000000004654: 7ECA02FA FF09085D
	v_and_b32_e32 v93, v93, v9                                 // 00000000465C: 26BA135D
	s_waitcnt lgkmcnt(0)                                       // 000000004660: BF8CC07F
	v_mov_b32_dpp v102, v94 row_shl:8 row_mask:0xf bank_mask:0xf bound_ctrl:1// 000000004664: 7ECC02FA FF09085E
	v_and_b32_e32 v94, v94, v9                                 // 00000000466C: 26BC135E
	v_mov_b32_dpp v103, v95 row_shl:8 row_mask:0xf bank_mask:0xf bound_ctrl:1// 000000004670: 7ECE02FA FF09085F
	v_and_b32_e32 v95, v95, v9                                 // 000000004678: 26BE135F
	s_waitcnt vmcnt(0)                                         // 00000000467C: BF8C0F70
	s_barrier                                                  // 000000004680: BF8A0000
	v_mfma_f32_16x16x32_fp8_fp8 v[104:107], a[64:65], v[88:89], 0// 000000004684: D3F30068 0A02B140
	v_mfma_f32_16x16x32_fp8_fp8 v[104:107], a[66:67], v[90:91], v[104:107]// 00000000468C: D3F30068 0DA2B542
	v_mfma_f32_16x16x32_fp8_fp8 v[104:107], a[68:69], v[92:93], v[104:107]// 000000004694: D3F30068 0DA2B944
	v_mfma_f32_16x16x32_fp8_fp8 v[104:107], a[70:71], v[94:95], v[104:107]// 00000000469C: D3F30068 0DA2BD46
	v_mfma_f32_16x16x32_fp8_fp8 v[104:107], a[72:73], v[96:97], v[104:107]// 0000000046A4: D3F30068 0DA2C148
	v_mfma_f32_16x16x32_fp8_fp8 v[104:107], a[74:75], v[98:99], v[104:107]// 0000000046AC: D3F30068 0DA2C54A
	v_mfma_f32_16x16x32_fp8_fp8 v[104:107], a[76:77], v[100:101], v[104:107]// 0000000046B4: D3F30068 0DA2C94C
	v_mfma_f32_16x16x32_fp8_fp8 v[104:107], a[78:79], v[102:103], v[104:107]// 0000000046BC: D3F30068 0DA2CD4E
	v_mfma_f32_16x16x32_fp8_fp8 v[108:111], a[80:81], v[88:89], 0// 0000000046C4: D3F3006C 0A02B150
	v_mfma_f32_16x16x32_fp8_fp8 v[108:111], a[82:83], v[90:91], v[108:111]// 0000000046CC: D3F3006C 0DB2B552
	v_mfma_f32_16x16x32_fp8_fp8 v[108:111], a[84:85], v[92:93], v[108:111]// 0000000046D4: D3F3006C 0DB2B954
	v_mfma_f32_16x16x32_fp8_fp8 v[108:111], a[86:87], v[94:95], v[108:111]// 0000000046DC: D3F3006C 0DB2BD56
	v_mfma_f32_16x16x32_fp8_fp8 v[108:111], a[88:89], v[96:97], v[108:111]// 0000000046E4: D3F3006C 0DB2C158
	v_mfma_f32_16x16x32_fp8_fp8 v[108:111], a[90:91], v[98:99], v[108:111]// 0000000046EC: D3F3006C 0DB2C55A
	v_mfma_f32_16x16x32_fp8_fp8 v[108:111], a[92:93], v[100:101], v[108:111]// 0000000046F4: D3F3006C 0DB2C95C
	v_mfma_f32_16x16x32_fp8_fp8 v[108:111], a[94:95], v[102:103], v[108:111]// 0000000046FC: D3F3006C 0DB2CD5E
	s_nop 4                                                    // 000000004704: BF800004
	s_branch label_0D22                                        // 000000004708: BF8201DD

000000000000470c <label_0B45>:
	s_waitcnt vmcnt(8) lgkmcnt(0)                              // 00000000470C: BF8C0078
	s_barrier                                                  // 000000004710: BF8A0000
	v_mfma_f32_16x16x32_fp8_fp8 v[88:91], a[32:33], v[80:81], 0// 000000004714: D3F30058 0A02A120
	v_mfma_f32_16x16x32_fp8_fp8 v[88:91], a[34:35], v[82:83], v[88:91]// 00000000471C: D3F30058 0D62A522
	v_mfma_f32_16x16x32_fp8_fp8 v[88:91], a[36:37], v[84:85], v[88:91]// 000000004724: D3F30058 0D62A924
	v_mfma_f32_16x16x32_fp8_fp8 v[88:91], a[38:39], v[86:87], v[88:91]// 00000000472C: D3F30058 0D62AD26
	v_mfma_f32_16x16x32_fp8_fp8 v[92:95], a[40:41], v[80:81], 0// 000000004734: D3F3005C 0A02A128
	v_mfma_f32_16x16x32_fp8_fp8 v[92:95], a[42:43], v[82:83], v[92:95]// 00000000473C: D3F3005C 0D72A52A
	v_mfma_f32_16x16x32_fp8_fp8 v[92:95], a[44:45], v[84:85], v[92:95]// 000000004744: D3F3005C 0D72A92C
	v_mfma_f32_16x16x32_fp8_fp8 v[92:95], a[46:47], v[86:87], v[92:95]// 00000000474C: D3F3005C 0D72AD2E
	v_mfma_f32_16x16x32_fp8_fp8 v[96:99], a[48:49], v[80:81], 0// 000000004754: D3F30060 0A02A130
	v_mfma_f32_16x16x32_fp8_fp8 v[96:99], a[50:51], v[82:83], v[96:99]// 00000000475C: D3F30060 0D82A532
	v_mfma_f32_16x16x32_fp8_fp8 v[96:99], a[52:53], v[84:85], v[96:99]// 000000004764: D3F30060 0D82A934
	v_mfma_f32_16x16x32_fp8_fp8 v[96:99], a[54:55], v[86:87], v[96:99]// 00000000476C: D3F30060 0D82AD36
	v_mfma_f32_16x16x32_fp8_fp8 v[100:103], a[56:57], v[80:81], 0// 000000004774: D3F30064 0A02A138
	v_mfma_f32_16x16x32_fp8_fp8 v[100:103], a[58:59], v[82:83], v[100:103]// 00000000477C: D3F30064 0D92A53A
	v_mfma_f32_16x16x32_fp8_fp8 v[100:103], a[60:61], v[84:85], v[100:103]// 000000004784: D3F30064 0D92A93C
	v_mfma_f32_16x16x32_fp8_fp8 v[100:103], a[62:63], v[86:87], v[100:103]// 00000000478C: D3F30064 0D92AD3E
	v_mov_b32_dpp v38, v45 row_shr:4 row_mask:0xf bank_mask:0xf// 000000004794: 7E4C02FA FF01142D
	v_mov_b32_dpp v39, v45 row_shl:4 row_mask:0xf bank_mask:0xf// 00000000479C: 7E4E02FA FF01042D
	v_cndmask_b32_e64 v18, v45, v38, s[44:45]                  // 0000000047A4: D1000012 00B24D2D
	v_cndmask_b32_e64 v19, v39, v45, s[44:45]                  // 0000000047AC: D1000013 00B25B27
	v_mov_b32_dpp v38, v56 row_shr:4 row_mask:0xf bank_mask:0xf// 0000000047B4: 7E4C02FA FF011438
	v_mov_b32_dpp v39, v56 row_shl:4 row_mask:0xf bank_mask:0xf// 0000000047BC: 7E4E02FA FF010438
	v_cndmask_b32_e64 v20, v56, v38, s[44:45]                  // 0000000047C4: D1000014 00B24D38
	v_cndmask_b32_e64 v21, v39, v56, s[44:45]                  // 0000000047CC: D1000015 00B27127
	v_or_b32_dpp v88, v96, v88 row_shr:8 row_mask:0xf bank_mask:0xf bound_ctrl:1// 0000000047D4: 28B0B0FA FF091860
	v_or_b32_dpp v89, v97, v89 row_shr:8 row_mask:0xf bank_mask:0xf bound_ctrl:1// 0000000047DC: 28B2B2FA FF091861
	v_or_b32_dpp v90, v98, v90 row_shr:8 row_mask:0xf bank_mask:0xf bound_ctrl:1// 0000000047E4: 28B4B4FA FF091862
	v_or_b32_dpp v91, v99, v91 row_shr:8 row_mask:0xf bank_mask:0xf bound_ctrl:1// 0000000047EC: 28B6B6FA FF091863
	v_or_b32_dpp v92, v100, v92 row_shr:8 row_mask:0xf bank_mask:0xf bound_ctrl:1// 0000000047F4: 28B8B8FA FF091864
	v_or_b32_dpp v93, v101, v93 row_shr:8 row_mask:0xf bank_mask:0xf bound_ctrl:1// 0000000047FC: 28BABAFA FF091865
	v_or_b32_dpp v94, v102, v94 row_shr:8 row_mask:0xf bank_mask:0xf bound_ctrl:1// 000000004804: 28BCBCFA FF091866
	v_or_b32_dpp v95, v103, v95 row_shr:8 row_mask:0xf bank_mask:0xf bound_ctrl:1// 00000000480C: 28BEBEFA FF091867
	v_mul_f32_e32 v88, v46, v88                                // 000000004814: 0AB0B12E
	v_mul_f32_e32 v89, v46, v89                                // 000000004818: 0AB2B32E
	v_mul_f32_e32 v90, v46, v90                                // 00000000481C: 0AB4B52E
	v_mul_f32_e32 v91, v46, v91                                // 000000004820: 0AB6B72E
	v_mul_f32_e32 v92, v46, v92                                // 000000004824: 0AB8B92E
	v_mul_f32_e32 v93, v46, v93                                // 000000004828: 0ABABB2E
	v_mul_f32_e32 v94, v46, v94                                // 00000000482C: 0ABCBD2E
	v_mul_f32_e32 v95, v46, v95                                // 000000004830: 0ABEBF2E
	v_mul_f32_dpp v88, v18, v88 quad_perm:[0,0,0,0] row_mask:0xf bank_mask:0xf// 000000004834: 0AB0B0FA FF000012
	v_mul_f32_dpp v89, v18, v89 quad_perm:[1,1,1,1] row_mask:0xf bank_mask:0xf// 00000000483C: 0AB2B2FA FF005512
	v_mul_f32_dpp v90, v18, v90 quad_perm:[2,2,2,2] row_mask:0xf bank_mask:0xf// 000000004844: 0AB4B4FA FF00AA12
	v_mul_f32_dpp v91, v18, v91 quad_perm:[3,3,3,3] row_mask:0xf bank_mask:0xf// 00000000484C: 0AB6B6FA FF00FF12
	v_mul_f32_dpp v92, v19, v92 quad_perm:[0,0,0,0] row_mask:0xf bank_mask:0xf// 000000004854: 0AB8B8FA FF000013
	v_mul_f32_dpp v93, v19, v93 quad_perm:[1,1,1,1] row_mask:0xf bank_mask:0xf// 00000000485C: 0ABABAFA FF005513
	v_mul_f32_dpp v94, v19, v94 quad_perm:[2,2,2,2] row_mask:0xf bank_mask:0xf// 000000004864: 0ABCBCFA FF00AA13
	v_mul_f32_dpp v95, v19, v95 quad_perm:[3,3,3,3] row_mask:0xf bank_mask:0xf// 00000000486C: 0ABEBEFA FF00FF13
	s_and_b32 s60, s72, 0xff                                   // 000000004874: 863CFF48 000000FF
	v_mov_b32_e32 v62, s60                                     // 00000000487C: 7E7C023C
	v_lshrrev_b32_e32 v116, 4, v0                              // 000000004880: 20E80084
	v_mul_i32_i24_e32 v116, 4, v116                            // 000000004884: 0CE8E884
	v_and_b32_e32 v38, 15, v0                                  // 000000004888: 264C008F
	v_lshrrev_b32_e32 v38, 3, v38                              // 00000000488C: 204C4C83
	v_mul_i32_i24_e32 v38, 0x80, v38                           // 000000004890: 0C4C4CFF 00000080
	v_add_u32_e32 v116, v38, v116                              // 000000004898: 68E8E926
	s_mul_i32 s60, s7, 16                                      // 00000000489C: 923C9007
	v_add_u32_e32 v116, s60, v116                              // 0000000048A0: 68E8E83C
	v_add_u32_e32 v117, 1, v116                                // 0000000048A4: 68EAE881
	v_add_u32_e32 v118, 2, v116                                // 0000000048A8: 68ECE882
	v_add_u32_e32 v119, 3, v116                                // 0000000048AC: 68EEE883
	v_cmp_lt_u32_e64 s[40:41], v116, v62                       // 0000000048B0: D0C90028 00027D74
	v_add_u32_e32 v116, 64, v116                               // 0000000048B8: 68E8E8C0
	s_nop 0                                                    // 0000000048BC: BF800000
	v_cndmask_b32_e64 v88, v52, v88, s[40:41]                  // 0000000048C0: D1000058 00A2B134
	v_cmp_lt_u32_e64 s[40:41], v117, v62                       // 0000000048C8: D0C90028 00027D75
	v_add_u32_e32 v117, 64, v117                               // 0000000048D0: 68EAEAC0
	s_nop 0                                                    // 0000000048D4: BF800000
	v_cndmask_b32_e64 v89, v52, v89, s[40:41]                  // 0000000048D8: D1000059 00A2B334
	v_cmp_lt_u32_e64 s[40:41], v118, v62                       // 0000000048E0: D0C90028 00027D76
	v_add_u32_e32 v118, 64, v118                               // 0000000048E8: 68ECECC0
	s_nop 0                                                    // 0000000048EC: BF800000
	v_cndmask_b32_e64 v90, v52, v90, s[40:41]                  // 0000000048F0: D100005A 00A2B534
	v_cmp_lt_u32_e64 s[40:41], v119, v62                       // 0000000048F8: D0C90028 00027D77
	v_add_u32_e32 v119, 64, v119                               // 000000004900: 68EEEEC0
	s_nop 0                                                    // 000000004904: BF800000
	v_cndmask_b32_e64 v91, v52, v91, s[40:41]                  // 000000004908: D100005B 00A2B734
	v_cmp_lt_u32_e64 s[40:41], v116, v62                       // 000000004910: D0C90028 00027D74
	v_add_u32_e32 v116, 64, v116                               // 000000004918: 68E8E8C0
	s_nop 0                                                    // 00000000491C: BF800000
	v_cndmask_b32_e64 v92, v52, v92, s[40:41]                  // 000000004920: D100005C 00A2B934
	v_cmp_lt_u32_e64 s[40:41], v117, v62                       // 000000004928: D0C90028 00027D75
	v_add_u32_e32 v117, 64, v117                               // 000000004930: 68EAEAC0
	s_nop 0                                                    // 000000004934: BF800000
	v_cndmask_b32_e64 v93, v52, v93, s[40:41]                  // 000000004938: D100005D 00A2BB34
	v_cmp_lt_u32_e64 s[40:41], v118, v62                       // 000000004940: D0C90028 00027D76
	v_add_u32_e32 v118, 64, v118                               // 000000004948: 68ECECC0
	s_nop 0                                                    // 00000000494C: BF800000
	v_cndmask_b32_e64 v94, v52, v94, s[40:41]                  // 000000004950: D100005E 00A2BD34
	v_cmp_lt_u32_e64 s[40:41], v119, v62                       // 000000004958: D0C90028 00027D77
	v_add_u32_e32 v119, 64, v119                               // 000000004960: 68EEEEC0
	s_nop 0                                                    // 000000004964: BF800000
	v_cndmask_b32_e64 v95, v52, v95, s[40:41]                  // 000000004968: D100005F 00A2BF34
	v_mov_b32_e32 v48, v88                                     // 000000004970: 7E600358
	v_max3_f32 v48, v88, v89, v48                              // 000000004974: D1D30030 04C2B358
	v_max3_f32 v48, v90, v91, v48                              // 00000000497C: D1D30030 04C2B75A
	v_max3_f32 v48, v92, v93, v48                              // 000000004984: D1D30030 04C2BB5C
	v_max3_f32 v48, v94, v95, v48                              // 00000000498C: D1D30030 04C2BF5E
	ds_write_b32 v11, v48 offset:4224                          // 000000004994: D81A1080 0000300B
	v_mul_u32_u24_dpp v38, v16, v51 row_newbcast:1 row_mask:0xf bank_mask:0xf// 00000000499C: 104C66FA FF015110
	v_mul_u32_u24_dpp v39, v16, v51 row_newbcast:5 row_mask:0xf bank_mask:0xf// 0000000049A4: 104E66FA FF015510
	v_mul_u32_u24_dpp v40, v16, v51 row_newbcast:9 row_mask:0xf bank_mask:0xf// 0000000049AC: 105066FA FF015910
	v_mul_u32_u24_dpp v41, v16, v51 row_newbcast:13 row_mask:0xf bank_mask:0xf// 0000000049B4: 105266FA FF015D10
	v_add_u32_e32 v30, v38, v7                                 // 0000000049BC: 683C0F26
	v_add_u32_e32 v31, v39, v7                                 // 0000000049C0: 683E0F27
	v_add_u32_e32 v32, v40, v7                                 // 0000000049C4: 68400F28
	v_add_u32_e32 v33, v41, v7                                 // 0000000049C8: 68420F29
	s_waitcnt lgkmcnt(0)                                       // 0000000049CC: BF8CC07F
	s_barrier                                                  // 0000000049D0: BF8A0000
	ds_read_b32 v64, v10 offset:4224                           // 0000000049D4: D86C1080 4000000A
	ds_read_b32 v65, v10 offset:4288                           // 0000000049DC: D86C10C0 4100000A
	ds_read_b32 v66, v10 offset:4352                           // 0000000049E4: D86C1100 4200000A
	ds_read_b32 v67, v10 offset:4416                           // 0000000049EC: D86C1140 4300000A
	ds_read_b32 v68, v10 offset:4480                           // 0000000049F4: D86C1180 4400000A
	ds_read_b32 v69, v10 offset:4544                           // 0000000049FC: D86C11C0 4500000A
	ds_read_b32 v70, v10 offset:4608                           // 000000004A04: D86C1200 4600000A
	ds_read_b32 v71, v10 offset:4672                           // 000000004A0C: D86C1240 4700000A
	ds_read_b32 v72, v10 offset:4736                           // 000000004A14: D86C1280 4800000A
	ds_read_b32 v73, v10 offset:4800                           // 000000004A1C: D86C12C0 4900000A
	ds_read_b32 v74, v10 offset:4864                           // 000000004A24: D86C1300 4A00000A
	ds_read_b32 v75, v10 offset:4928                           // 000000004A2C: D86C1340 4B00000A
	ds_read_b32 v76, v10 offset:4992                           // 000000004A34: D86C1380 4C00000A
	ds_read_b32 v77, v10 offset:5056                           // 000000004A3C: D86C13C0 4D00000A
	ds_read_b32 v78, v10 offset:5120                           // 000000004A44: D86C1400 4E00000A
	ds_read_b32 v79, v10 offset:5184                           // 000000004A4C: D86C1440 4F00000A
	v_mul_f32_e32 v112, v49, v112                              // 000000004A54: 0AE0E131
	v_mul_f32_e32 v113, v49, v113                              // 000000004A58: 0AE2E331
	v_mul_f32_e32 v114, v49, v114                              // 000000004A5C: 0AE4E531
	v_mul_f32_e32 v115, v49, v115                              // 000000004A60: 0AE6E731
	v_or_b32_dpp v104, v108, v104 row_shr:8 row_mask:0xf bank_mask:0xf bound_ctrl:1// 000000004A64: 28D0D0FA FF09186C
	v_or_b32_dpp v105, v109, v105 row_shr:8 row_mask:0xf bank_mask:0xf bound_ctrl:1// 000000004A6C: 28D2D2FA FF09186D
	v_or_b32_dpp v106, v110, v106 row_shr:8 row_mask:0xf bank_mask:0xf bound_ctrl:1// 000000004A74: 28D4D4FA FF09186E
	v_or_b32_dpp v107, v111, v107 row_shr:8 row_mask:0xf bank_mask:0xf bound_ctrl:1// 000000004A7C: 28D6D6FA FF09186F
	s_waitcnt lgkmcnt(0)                                       // 000000004A84: BF8CC07F
	v_max3_f32 v48, v64, v65, v48                              // 000000004A88: D1D30030 04C28340
	v_max3_f32 v48, v66, v67, v48                              // 000000004A90: D1D30030 04C28742
	v_max3_f32 v48, v68, v69, v48                              // 000000004A98: D1D30030 04C28B44
	v_max3_f32 v48, v70, v71, v48                              // 000000004AA0: D1D30030 04C28F46
	v_max3_f32 v48, v72, v73, v48                              // 000000004AA8: D1D30030 04C29348
	v_max3_f32 v48, v74, v75, v48                              // 000000004AB0: D1D30030 04C2974A
	v_max3_f32 v48, v76, v77, v48                              // 000000004AB8: D1D30030 04C29B4C
	v_max3_f32 v48, v78, v79, v48                              // 000000004AC0: D1D30030 04C29F4E
	v_cmp_eq_u32_e64 s[40:41], v52, v14                        // 000000004AC8: D0CA0028 00021D34
	s_nop 1                                                    // 000000004AD0: BF800001
	v_mov_b32_dpp v38, v48 row_ror:8 row_mask:0xf bank_mask:0xf// 000000004AD4: 7E4C02FA FF012830
	v_max_f32_e32 v48, v48, v38                                // 000000004ADC: 16604D30
	v_max_f32_e32 v15, v48, v14                                // 000000004AE0: 161E1D30
	v_mul_f32_e32 v50, s64, v15                                // 000000004AE4: 0A641E40
	v_fma_f32 v88, v88, s64, -v50                              // 000000004AE8: D1CB0058 84C88158
	v_fma_f32 v89, v89, s64, -v50                              // 000000004AF0: D1CB0059 84C88159
	v_fma_f32 v90, v90, s64, -v50                              // 000000004AF8: D1CB005A 84C8815A
	v_fma_f32 v91, v91, s64, -v50                              // 000000004B00: D1CB005B 84C8815B
	v_fma_f32 v92, v92, s64, -v50                              // 000000004B08: D1CB005C 84C8815C
	v_fma_f32 v93, v93, s64, -v50                              // 000000004B10: D1CB005D 84C8815D
	v_fma_f32 v94, v94, s64, -v50                              // 000000004B18: D1CB005E 84C8815E
	v_fma_f32 v95, v95, s64, -v50                              // 000000004B20: D1CB005F 84C8815F
	v_exp_f32_e32 v88, v88                                     // 000000004B28: 7EB04158
	v_exp_f32_e32 v89, v89                                     // 000000004B2C: 7EB24159
	v_exp_f32_e32 v90, v90                                     // 000000004B30: 7EB4415A
	v_exp_f32_e32 v91, v91                                     // 000000004B34: 7EB6415B
	v_exp_f32_e32 v92, v92                                     // 000000004B38: 7EB8415C
	v_exp_f32_e32 v93, v93                                     // 000000004B3C: 7EBA415D
	v_exp_f32_e32 v94, v94                                     // 000000004B40: 7EBC415E
	v_exp_f32_e32 v95, v95                                     // 000000004B44: 7EBE415F
	v_mul_f32_dpp v116, v20, v88 quad_perm:[0,0,0,0] row_mask:0xf bank_mask:0xf// 000000004B48: 0AE8B0FA FF000014
	v_mul_f32_dpp v117, v20, v89 quad_perm:[1,1,1,1] row_mask:0xf bank_mask:0xf// 000000004B50: 0AEAB2FA FF005514
	v_mul_f32_dpp v118, v20, v90 quad_perm:[2,2,2,2] row_mask:0xf bank_mask:0xf// 000000004B58: 0AECB4FA FF00AA14
	v_mul_f32_dpp v119, v20, v91 quad_perm:[3,3,3,3] row_mask:0xf bank_mask:0xf// 000000004B60: 0AEEB6FA FF00FF14
	v_mul_f32_dpp v120, v21, v92 quad_perm:[0,0,0,0] row_mask:0xf bank_mask:0xf// 000000004B68: 0AF0B8FA FF000015
	v_mul_f32_dpp v121, v21, v93 quad_perm:[1,1,1,1] row_mask:0xf bank_mask:0xf// 000000004B70: 0AF2BAFA FF005515
	v_mul_f32_dpp v122, v21, v94 quad_perm:[2,2,2,2] row_mask:0xf bank_mask:0xf// 000000004B78: 0AF4BCFA FF00AA15
	v_mul_f32_dpp v123, v21, v95 quad_perm:[3,3,3,3] row_mask:0xf bank_mask:0xf// 000000004B80: 0AF6BEFA FF00FF15
	v_mov_b32_e32 v48, 0x358637bd                              // 000000004B88: 7E6002FF 358637BD
	v_max3_f32 v48, |v116|, |v117|, v48                        // 000000004B90: D1D30330 04C2EB74
	v_max3_f32 v48, |v118|, |v119|, v48                        // 000000004B98: D1D30330 04C2EF76
	v_max3_f32 v48, |v120|, |v121|, v48                        // 000000004BA0: D1D30330 04C2F378
	v_max3_f32 v48, |v122|, |v123|, v48                        // 000000004BA8: D1D30330 04C2F77A
	ds_write_b32 v11, v48 offset:5248                          // 000000004BB0: D81A1480 0000300B
	v_sub_f32_e32 v49, v14, v15                                // 000000004BB8: 04621F0E
	v_cndmask_b32_e64 v49, v49, 0, s[40:41]                    // 000000004BBC: D1000031 00A10131
	v_mov_b32_e32 v14, v15                                     // 000000004BC4: 7E1C030F
	v_mul_f32_e32 v49, s64, v49                                // 000000004BC8: 0A626240
	v_exp_f32_e32 v49, v49                                     // 000000004BCC: 7E624131
	s_waitcnt lgkmcnt(0)                                       // 000000004BD0: BF8CC07F
	s_barrier                                                  // 000000004BD4: BF8A0000
	ds_read_b32 v64, v10 offset:5248                           // 000000004BD8: D86C1480 4000000A
	ds_read_b32 v65, v10 offset:5312                           // 000000004BE0: D86C14C0 4100000A
	ds_read_b32 v66, v10 offset:5376                           // 000000004BE8: D86C1500 4200000A
	ds_read_b32 v67, v10 offset:5440                           // 000000004BF0: D86C1540 4300000A
	ds_read_b32 v68, v10 offset:5504                           // 000000004BF8: D86C1580 4400000A
	ds_read_b32 v69, v10 offset:5568                           // 000000004C00: D86C15C0 4500000A
	ds_read_b32 v70, v10 offset:5632                           // 000000004C08: D86C1600 4600000A
	ds_read_b32 v71, v10 offset:5696                           // 000000004C10: D86C1640 4700000A
	ds_read_b32 v72, v10 offset:5760                           // 000000004C18: D86C1680 4800000A
	ds_read_b32 v73, v10 offset:5824                           // 000000004C20: D86C16C0 4900000A
	ds_read_b32 v74, v10 offset:5888                           // 000000004C28: D86C1700 4A00000A
	ds_read_b32 v75, v10 offset:5952                           // 000000004C30: D86C1740 4B00000A
	ds_read_b32 v76, v10 offset:6016                           // 000000004C38: D86C1780 4C00000A
	ds_read_b32 v77, v10 offset:6080                           // 000000004C40: D86C17C0 4D00000A
	ds_read_b32 v78, v10 offset:6144                           // 000000004C48: D86C1800 4E00000A
	ds_read_b32 v79, v10 offset:6208                           // 000000004C50: D86C1840 4F00000A
	v_mul_f32_e32 v42, v49, v42                                // 000000004C58: 0A545531
	v_mov_b32_e32 v43, v88                                     // 000000004C5C: 7E560358
	v_add_f32_e32 v43, v89, v43                                // 000000004C60: 02565759
	v_add_f32_e32 v43, v90, v43                                // 000000004C64: 0256575A
	v_add_f32_e32 v43, v91, v43                                // 000000004C68: 0256575B
	v_add_f32_e32 v43, v92, v43                                // 000000004C6C: 0256575C
	v_add_f32_e32 v43, v93, v43                                // 000000004C70: 0256575D
	v_add_f32_e32 v43, v94, v43                                // 000000004C74: 0256575E
	v_add_f32_e32 v43, v95, v43                                // 000000004C78: 0256575F
	v_add_f32_e32 v42, v43, v42                                // 000000004C7C: 0254552B
	s_waitcnt lgkmcnt(0)                                       // 000000004C80: BF8CC07F
	v_max3_f32 v48, |v64|, |v65|, v48                          // 000000004C84: D1D30330 04C28340
	v_max3_f32 v48, |v66|, |v67|, v48                          // 000000004C8C: D1D30330 04C28742
	v_max3_f32 v48, |v68|, |v69|, v48                          // 000000004C94: D1D30330 04C28B44
	v_max3_f32 v48, |v70|, |v71|, v48                          // 000000004C9C: D1D30330 04C28F46
	v_max3_f32 v48, |v72|, |v73|, v48                          // 000000004CA4: D1D30330 04C29348
	v_max3_f32 v48, |v74|, |v75|, v48                          // 000000004CAC: D1D30330 04C2974A
	v_max3_f32 v48, |v76|, |v77|, v48                          // 000000004CB4: D1D30330 04C29B4C
	v_max3_f32 v48, |v78|, |v79|, v48                          // 000000004CBC: D1D30330 04C29F4E
	s_nop 2                                                    // 000000004CC4: BF800002
	v_mov_b32_dpp v38, v48 row_ror:8 row_mask:0xf bank_mask:0xf// 000000004CC8: 7E4C02FA FF012830
	v_max_f32_e32 v48, v48, v38                                // 000000004CD0: 16604D30
	v_rcp_f32_e32 v48, v48                                     // 000000004CD4: 7E604530
	s_nop 1                                                    // 000000004CD8: BF800001
	v_mul_f32_e32 v48, 0x43700000, v48                         // 000000004CDC: 0A6060FF 43700000
	v_mul_f32_e32 v88, v48, v116                               // 000000004CE4: 0AB0E930
	v_mul_f32_e32 v89, v48, v117                               // 000000004CE8: 0AB2EB30
	v_mul_f32_e32 v90, v48, v118                               // 000000004CEC: 0AB4ED30
	v_mul_f32_e32 v91, v48, v119                               // 000000004CF0: 0AB6EF30
	v_mul_f32_e32 v92, v48, v120                               // 000000004CF4: 0AB8F130
	v_mul_f32_e32 v93, v48, v121                               // 000000004CF8: 0ABAF330
	v_mul_f32_e32 v94, v48, v122                               // 000000004CFC: 0ABCF530
	v_mul_f32_e32 v95, v48, v123                               // 000000004D00: 0ABEF730
	v_cvt_pk_fp8_f32 v88, v88, v89                             // 000000004D04: D2A20058 0002B358
	v_cvt_pk_fp8_f32 v88, v90, v91 op_sel:[0,0,1]              // 000000004D0C: D2A24058 0002B75A
	v_cvt_pk_fp8_f32 v89, v92, v93                             // 000000004D14: D2A20059 0002BB5C
	v_cvt_pk_fp8_f32 v89, v94, v95 op_sel:[0,0,1]              // 000000004D1C: D2A24059 0002BF5E
	ds_write_b32 v13, v88 offset:6272                          // 000000004D24: D81A1880 0000580D
	ds_write_b32 v13, v89 offset:7296                          // 000000004D2C: D81A1C80 0000590D
	v_mul_f32_e32 v104, v47, v104                              // 000000004D34: 0AD0D12F
	v_mul_f32_e32 v105, v47, v105                              // 000000004D38: 0AD2D32F
	v_mul_f32_e32 v106, v47, v106                              // 000000004D3C: 0AD4D52F
	v_mul_f32_e32 v107, v47, v107                              // 000000004D40: 0AD6D72F
	v_rcp_f32_e32 v47, v48                                     // 000000004D44: 7E5E4530
	s_waitcnt lgkmcnt(0)                                       // 000000004D48: BF8CC07F
	s_barrier                                                  // 000000004D4C: BF8A0000
	ds_read_b64 v[88:89], v12 offset:6272                      // 000000004D50: D8EC1880 5800000C
	ds_read_b64 v[90:91], v12 offset:6400                      // 000000004D58: D8EC1900 5A00000C
	ds_read_b64 v[92:93], v12 offset:7296                      // 000000004D60: D8EC1C80 5C00000C
	ds_read_b64 v[94:95], v12 offset:7424                      // 000000004D68: D8EC1D00 5E00000C
	v_add_f32_e32 v112, v112, v104                             // 000000004D70: 02E0D170
	v_add_f32_e32 v113, v113, v105                             // 000000004D74: 02E2D371
	v_add_f32_e32 v114, v114, v106                             // 000000004D78: 02E4D572
	v_add_f32_e32 v115, v115, v107                             // 000000004D7C: 02E6D773
	s_waitcnt lgkmcnt(3)                                       // 000000004D80: BF8CC37F
	v_mov_b32_dpp v96, v88 row_shl:8 row_mask:0xf bank_mask:0xf bound_ctrl:1// 000000004D84: 7EC002FA FF090858
	v_and_b32_e32 v88, v88, v9                                 // 000000004D8C: 26B01358
	v_mov_b32_dpp v97, v89 row_shl:8 row_mask:0xf bank_mask:0xf bound_ctrl:1// 000000004D90: 7EC202FA FF090859
	v_and_b32_e32 v89, v89, v9                                 // 000000004D98: 26B21359
	s_waitcnt lgkmcnt(2)                                       // 000000004D9C: BF8CC27F
	v_mov_b32_dpp v98, v90 row_shl:8 row_mask:0xf bank_mask:0xf bound_ctrl:1// 000000004DA0: 7EC402FA FF09085A
	v_and_b32_e32 v90, v90, v9                                 // 000000004DA8: 26B4135A
	v_mov_b32_dpp v99, v91 row_shl:8 row_mask:0xf bank_mask:0xf bound_ctrl:1// 000000004DAC: 7EC602FA FF09085B
	v_and_b32_e32 v91, v91, v9                                 // 000000004DB4: 26B6135B
	s_waitcnt lgkmcnt(1)                                       // 000000004DB8: BF8CC17F
	v_mov_b32_dpp v100, v92 row_shl:8 row_mask:0xf bank_mask:0xf bound_ctrl:1// 000000004DBC: 7EC802FA FF09085C
	v_and_b32_e32 v92, v92, v9                                 // 000000004DC4: 26B8135C
	v_mov_b32_dpp v101, v93 row_shl:8 row_mask:0xf bank_mask:0xf bound_ctrl:1// 000000004DC8: 7ECA02FA FF09085D
	v_and_b32_e32 v93, v93, v9                                 // 000000004DD0: 26BA135D
	s_waitcnt lgkmcnt(0)                                       // 000000004DD4: BF8CC07F
	v_mov_b32_dpp v102, v94 row_shl:8 row_mask:0xf bank_mask:0xf bound_ctrl:1// 000000004DD8: 7ECC02FA FF09085E
	v_and_b32_e32 v94, v94, v9                                 // 000000004DE0: 26BC135E
	v_mov_b32_dpp v103, v95 row_shl:8 row_mask:0xf bank_mask:0xf bound_ctrl:1// 000000004DE4: 7ECE02FA FF09085F
	v_and_b32_e32 v95, v95, v9                                 // 000000004DEC: 26BE135F
	s_waitcnt vmcnt(0)                                         // 000000004DF0: BF8C0F70
	s_barrier                                                  // 000000004DF4: BF8A0000
	v_mfma_f32_16x16x32_fp8_fp8 v[104:107], a[96:97], v[88:89], 0// 000000004DF8: D3F30068 0A02B160
	v_mfma_f32_16x16x32_fp8_fp8 v[104:107], a[98:99], v[90:91], v[104:107]// 000000004E00: D3F30068 0DA2B562
	v_mfma_f32_16x16x32_fp8_fp8 v[104:107], a[100:101], v[92:93], v[104:107]// 000000004E08: D3F30068 0DA2B964
	v_mfma_f32_16x16x32_fp8_fp8 v[104:107], a[102:103], v[94:95], v[104:107]// 000000004E10: D3F30068 0DA2BD66
	v_mfma_f32_16x16x32_fp8_fp8 v[104:107], a[104:105], v[96:97], v[104:107]// 000000004E18: D3F30068 0DA2C168
	v_mfma_f32_16x16x32_fp8_fp8 v[104:107], a[106:107], v[98:99], v[104:107]// 000000004E20: D3F30068 0DA2C56A
	v_mfma_f32_16x16x32_fp8_fp8 v[104:107], a[108:109], v[100:101], v[104:107]// 000000004E28: D3F30068 0DA2C96C
	v_mfma_f32_16x16x32_fp8_fp8 v[104:107], a[110:111], v[102:103], v[104:107]// 000000004E30: D3F30068 0DA2CD6E
	v_mfma_f32_16x16x32_fp8_fp8 v[108:111], a[112:113], v[88:89], 0// 000000004E38: D3F3006C 0A02B170
	v_mfma_f32_16x16x32_fp8_fp8 v[108:111], a[114:115], v[90:91], v[108:111]// 000000004E40: D3F3006C 0DB2B572
	v_mfma_f32_16x16x32_fp8_fp8 v[108:111], a[116:117], v[92:93], v[108:111]// 000000004E48: D3F3006C 0DB2B974
	v_mfma_f32_16x16x32_fp8_fp8 v[108:111], a[118:119], v[94:95], v[108:111]// 000000004E50: D3F3006C 0DB2BD76
	v_mfma_f32_16x16x32_fp8_fp8 v[108:111], a[120:121], v[96:97], v[108:111]// 000000004E58: D3F3006C 0DB2C178
	v_mfma_f32_16x16x32_fp8_fp8 v[108:111], a[122:123], v[98:99], v[108:111]// 000000004E60: D3F3006C 0DB2C57A
	v_mfma_f32_16x16x32_fp8_fp8 v[108:111], a[124:125], v[100:101], v[108:111]// 000000004E68: D3F3006C 0DB2C97C
	v_mfma_f32_16x16x32_fp8_fp8 v[108:111], a[126:127], v[102:103], v[108:111]// 000000004E70: D3F3006C 0DB2CD7E
	s_nop 4                                                    // 000000004E78: BF800004
	s_branch label_0D22                                        // 000000004E7C: BF820000

0000000000004e80 <label_0D22>:
	v_mul_f32_e32 v112, v49, v112                              // 000000004E80: 0AE0E131
	v_mul_f32_e32 v113, v49, v113                              // 000000004E84: 0AE2E331
	v_mul_f32_e32 v114, v49, v114                              // 000000004E88: 0AE4E531
	v_mul_f32_e32 v115, v49, v115                              // 000000004E8C: 0AE6E731
	v_or_b32_dpp v104, v108, v104 row_shr:8 row_mask:0xf bank_mask:0xf bound_ctrl:1// 000000004E90: 28D0D0FA FF09186C
	v_or_b32_dpp v105, v109, v105 row_shr:8 row_mask:0xf bank_mask:0xf bound_ctrl:1// 000000004E98: 28D2D2FA FF09186D
	v_or_b32_dpp v106, v110, v106 row_shr:8 row_mask:0xf bank_mask:0xf bound_ctrl:1// 000000004EA0: 28D4D4FA FF09186E
	v_or_b32_dpp v107, v111, v107 row_shr:8 row_mask:0xf bank_mask:0xf bound_ctrl:1// 000000004EA8: 28D6D6FA FF09186F
	v_mul_f32_e32 v104, v47, v104                              // 000000004EB0: 0AD0D12F
	v_mul_f32_e32 v105, v47, v105                              // 000000004EB4: 0AD2D32F
	v_mul_f32_e32 v106, v47, v106                              // 000000004EB8: 0AD4D52F
	v_mul_f32_e32 v107, v47, v107                              // 000000004EBC: 0AD6D72F
	v_add_f32_e32 v112, v112, v104                             // 000000004EC0: 02E0D170
	v_add_f32_e32 v113, v113, v105                             // 000000004EC4: 02E2D371
	v_add_f32_e32 v114, v114, v106                             // 000000004EC8: 02E4D572
	v_add_f32_e32 v115, v115, v107                             // 000000004ECC: 02E6D773
	ds_write_b32 v11, v42 offset:4224                          // 000000004ED0: D81A1080 00002A0B
	s_waitcnt lgkmcnt(0)                                       // 000000004ED8: BF8CC07F
	s_barrier                                                  // 000000004EDC: BF8A0000
	ds_read_b32 v64, v10 offset:4224                           // 000000004EE0: D86C1080 4000000A
	ds_read_b32 v65, v10 offset:4288                           // 000000004EE8: D86C10C0 4100000A
	ds_read_b32 v66, v10 offset:4352                           // 000000004EF0: D86C1100 4200000A
	ds_read_b32 v67, v10 offset:4416                           // 000000004EF8: D86C1140 4300000A
	ds_read_b32 v68, v10 offset:4480                           // 000000004F00: D86C1180 4400000A
	ds_read_b32 v69, v10 offset:4544                           // 000000004F08: D86C11C0 4500000A
	ds_read_b32 v70, v10 offset:4608                           // 000000004F10: D86C1200 4600000A
	ds_read_b32 v71, v10 offset:4672                           // 000000004F18: D86C1240 4700000A
	ds_read_b32 v72, v10 offset:4736                           // 000000004F20: D86C1280 4800000A
	ds_read_b32 v73, v10 offset:4800                           // 000000004F28: D86C12C0 4900000A
	ds_read_b32 v74, v10 offset:4864                           // 000000004F30: D86C1300 4A00000A
	ds_read_b32 v75, v10 offset:4928                           // 000000004F38: D86C1340 4B00000A
	ds_read_b32 v76, v10 offset:4992                           // 000000004F40: D86C1380 4C00000A
	ds_read_b32 v77, v10 offset:5056                           // 000000004F48: D86C13C0 4D00000A
	ds_read_b32 v78, v10 offset:5120                           // 000000004F50: D86C1400 4E00000A
	ds_read_b32 v79, v10 offset:5184                           // 000000004F58: D86C1440 4F00000A
	s_waitcnt lgkmcnt(0)                                       // 000000004F60: BF8CC07F
	v_mov_b32_e32 v42, 0                                       // 000000004F64: 7E540280
	v_add_f32_e32 v42, v64, v42                                // 000000004F68: 02545540
	v_add_f32_e32 v42, v65, v42                                // 000000004F6C: 02545541
	v_add_f32_e32 v42, v66, v42                                // 000000004F70: 02545542
	v_add_f32_e32 v42, v67, v42                                // 000000004F74: 02545543
	v_add_f32_e32 v42, v68, v42                                // 000000004F78: 02545544
	v_add_f32_e32 v42, v69, v42                                // 000000004F7C: 02545545
	v_add_f32_e32 v42, v70, v42                                // 000000004F80: 02545546
	v_add_f32_e32 v42, v71, v42                                // 000000004F84: 02545547
	v_add_f32_e32 v42, v72, v42                                // 000000004F88: 02545548
	v_add_f32_e32 v42, v73, v42                                // 000000004F8C: 02545549
	v_add_f32_e32 v42, v74, v42                                // 000000004F90: 0254554A
	v_add_f32_e32 v42, v75, v42                                // 000000004F94: 0254554B
	v_add_f32_e32 v42, v76, v42                                // 000000004F98: 0254554C
	v_add_f32_e32 v42, v77, v42                                // 000000004F9C: 0254554D
	v_add_f32_e32 v42, v78, v42                                // 000000004FA0: 0254554E
	v_add_f32_e32 v42, v79, v42                                // 000000004FA4: 0254554F
	s_nop 1                                                    // 000000004FA8: BF800001
	v_mov_b32_dpp v38, v42 row_ror:8 row_mask:0xf bank_mask:0xf// 000000004FAC: 7E4C02FA FF01282A
	v_add_f32_e32 v42, v42, v38                                // 000000004FB4: 02544D2A
	v_rcp_f32_e32 v42, v42                                     // 000000004FB8: 7E54452A
	s_nop 1                                                    // 000000004FBC: BF800001
	v_mul_f32_e32 v112, v42, v112                              // 000000004FC0: 0AE0E12A
	v_mul_f32_e32 v113, v42, v113                              // 000000004FC4: 0AE2E32A
	v_mul_f32_e32 v114, v42, v114                              // 000000004FC8: 0AE4E52A
	v_mul_f32_e32 v115, v42, v115                              // 000000004FCC: 0AE6E72A
	v_cvt_f16_f32_e32 v112, v112                               // 000000004FD0: 7EE01570
	v_cvt_f16_f32_sdwa v112, v113 dst_sel:WORD_1 dst_unused:UNUSED_PRESERVE src0_sel:DWORD// 000000004FD4: 7EE014F9 00061571
	v_cvt_f16_f32_e32 v113, v114                               // 000000004FDC: 7EE21572
	v_cvt_f16_f32_sdwa v113, v115 dst_sel:WORD_1 dst_unused:UNUSED_PRESERVE src0_sel:DWORD// 000000004FE0: 7EE214F9 00061573
	s_nop 1                                                    // 000000004FE8: BF800001
	v_mov_b32_dpp v114, v112 row_shl:8 row_mask:0xf bank_mask:0xf bound_ctrl:1// 000000004FEC: 7EE402FA FF090870
	v_and_b32_e32 v112, v112, v9                               // 000000004FF4: 26E01370
	v_mov_b32_dpp v115, v113 row_shl:8 row_mask:0xf bank_mask:0xf bound_ctrl:1// 000000004FF8: 7EE602FA FF090871
	v_and_b32_e32 v113, v113, v9                               // 000000005000: 26E21371
	v_lshrrev_b32_e32 v38, 4, v0                               // 000000005004: 204C0084
	v_mul_i32_i24_e32 v5, 34, v38                              // 000000005008: 0C0A4CA2
	v_and_b32_e32 v38, 15, v0                                  // 00000000500C: 264C008F
	v_mul_i32_i24_e32 v39, 2, v38                              // 000000005010: 0C4E4C82
	v_add_u32_e32 v5, v39, v5                                  // 000000005014: 680A0B27
	s_mul_i32 s60, s7, 0x88                                    // 000000005018: 923CFF07 00000088
	v_add_u32_e32 v5, s60, v5                                  // 000000005020: 680A0A3C
	v_lshlrev_b32_e32 v5, 2, v5                                // 000000005024: 240A0A82
	ds_write_b64 v5, v[112:113] offset:10368                   // 000000005028: D89A2880 00007005
	ds_write_b64 v5, v[114:115] offset:12544                   // 000000005030: D89A3100 00007205
	v_lshrrev_b32_e32 v38, 1, v0                               // 000000005038: 204C0081
	v_mul_i32_i24_e32 v5, 34, v38                              // 00000000503C: 0C0A4CA2
	v_and_b32_e32 v39, 1, v0                                   // 000000005040: 264E0081
	v_add_u32_e32 v5, v39, v5                                  // 000000005044: 680A0B27
	s_mul_i32 s60, s7, 2                                       // 000000005048: 923C8207
	v_add_u32_e32 v5, s60, v5                                  // 00000000504C: 680A0A3C
	v_lshlrev_b32_e32 v5, 2, v5                                // 000000005050: 240A0A82
	s_waitcnt lgkmcnt(0)                                       // 000000005054: BF8CC07F
	s_barrier                                                  // 000000005058: BF8A0000
	ds_read_b32 v112, v5 offset:10368                          // 00000000505C: D86C2880 70000005
	ds_read_b32 v113, v5 offset:10400                          // 000000005064: D86C28A0 71000005
	s_waitcnt lgkmcnt(0)                                       // 00000000506C: BF8CC07F
	buffer_store_dword v112, v8, s[8:11], 0 offen              // 000000005070: E0701000 80027008
	buffer_store_dword v113, v8, s[8:11], 0 offen offset:1024  // 000000005078: E0701400 80027108
	s_waitcnt vmcnt(0) expcnt(0) lgkmcnt(0)                    // 000000005080: BF8C0000
	s_endpgm                                                   // 000000005084: BF810000
